;; amdgpu-corpus repo=pytorch/pytorch kind=compiled arch=gfx1250 opt=O3
	.amdgcn_target "amdgcn-amd-amdhsa--gfx1250"
	.amdhsa_code_object_version 6
	.section	.text._ZN2at6native6detailL51split_with_sizes_copy_out_contiguous_no_cast_kernelEPPcS3_PlS4_S4_ll,"axG",@progbits,_ZN2at6native6detailL51split_with_sizes_copy_out_contiguous_no_cast_kernelEPPcS3_PlS4_S4_ll,comdat
	.globl	_ZN2at6native6detailL51split_with_sizes_copy_out_contiguous_no_cast_kernelEPPcS3_PlS4_S4_ll ; -- Begin function _ZN2at6native6detailL51split_with_sizes_copy_out_contiguous_no_cast_kernelEPPcS3_PlS4_S4_ll
	.p2align	8
	.type	_ZN2at6native6detailL51split_with_sizes_copy_out_contiguous_no_cast_kernelEPPcS3_PlS4_S4_ll,@function
_ZN2at6native6detailL51split_with_sizes_copy_out_contiguous_no_cast_kernelEPPcS3_PlS4_S4_ll: ; @_ZN2at6native6detailL51split_with_sizes_copy_out_contiguous_no_cast_kernelEPPcS3_PlS4_S4_ll
; %bb.0:
	s_load_b128 s[12:15], s[0:1], 0x30
	s_bfe_u32 s2, ttmp6, 0x40010
	s_bfe_u32 s4, ttmp6, 0x40004
	s_add_co_i32 s2, s2, 1
	s_wait_kmcnt 0x0
	s_mov_b32 s15, 0
	s_mul_i32 s3, ttmp7, s2
	s_getreg_b32 s2, hwreg(HW_REG_IB_STS2, 6, 4)
	s_add_co_i32 s4, s4, s3
	s_cmp_eq_u32 s2, 0
	s_cselect_b32 s14, ttmp7, s4
	s_delay_alu instid0(SALU_CYCLE_1)
	v_cmp_le_i64_e64 s3, s[12:13], s[14:15]
	s_and_b32 vcc_lo, exec_lo, s3
	s_cbranch_vccnz .LBB0_14
; %bb.1:
	s_load_b256 s[4:11], s[0:1], 0x0
	s_bfe_u32 s3, ttmp6, 0x4000c
	s_and_b32 s16, ttmp6, 15
	s_add_co_i32 s3, s3, 1
	s_mov_b32 s21, s15
	s_mul_i32 s3, ttmp9, s3
	v_mov_b32_e32 v1, 0
	s_add_co_i32 s16, s16, s3
	s_cmp_eq_u32 s2, 0
	s_cselect_b32 s20, ttmp9, s16
	s_wait_kmcnt 0x0
	s_load_b64 s[2:3], s[10:11], s20 offset:0x0 scale_offset
	s_load_b128 s[16:19], s[0:1], 0x20
	s_wait_xcnt 0x0
	s_clause 0x1
	s_load_b32 s10, s[0:1], 0x3c
	s_load_b32 s11, s[0:1], 0x44
	s_wait_kmcnt 0x0
	s_lshl_b64 s[22:23], s[2:3], 3
	s_mul_u64 s[26:27], s[18:19], s[14:15]
	s_add_nc_u64 s[16:17], s[16:17], s[22:23]
	s_add_nc_u64 s[8:9], s[8:9], s[22:23]
	s_load_b128 s[0:3], s[16:17], 0x0
	s_add_nc_u64 s[24:25], s[4:5], s[22:23]
	s_load_b64 s[4:5], s[8:9], 0x0
	s_wait_xcnt 0x0
	s_mov_b32 s17, s15
	s_load_b64 s[8:9], s[24:25], 0x0
	s_wait_xcnt 0x0
	s_lshl_b64 s[24:25], s[20:21], 4
	s_and_b32 s16, s11, 0xffff
	s_add_nc_u64 s[6:7], s[6:7], s[22:23]
	s_mov_b32 s11, s15
	s_load_b64 s[6:7], s[6:7], 0x0
	s_wait_kmcnt 0x0
	s_sub_nc_u64 s[20:21], s[20:21], s[0:1]
	s_lshl_b64 s[22:23], s[0:1], 4
	s_mul_u64 s[20:21], s[20:21], s[16:17]
	s_sub_nc_u64 s[22:23], s[24:25], s[22:23]
	v_add_nc_u64_e32 v[2:3], s[20:21], v[0:1]
	v_lshlrev_b32_e32 v0, 4, v0
	s_lshl_b64 s[20:21], s[20:21], 4
	s_sub_nc_u64 s[0:1], s[2:3], s[0:1]
	s_add_nc_u64 s[24:25], s[20:21], s[26:27]
	s_mul_u64 s[2:3], s[0:1], s[16:17]
	v_mad_nc_u64_u32 v[6:7], s22, s16, v[0:1]
	v_add_nc_u64_e32 v[4:5], s[24:25], v[0:1]
	s_mul_u64 s[24:25], s[4:5], s[14:15]
	v_add_nc_u64_e32 v[0:1], s[20:21], v[0:1]
	s_add_nc_u64 s[24:25], s[8:9], s[24:25]
	v_cmp_ge_i64_e64 s1, s[4:5], s[2:3]
	v_cmp_gt_i64_e64 s0, s[4:5], v[2:3]
	s_sub_nc_u64 s[20:21], s[18:19], s[4:5]
	v_sub_nc_u64_e64 v[4:5], v[4:5], s[24:25]
	s_lshl_b64 s[2:3], s[2:3], 4
	v_sub_nc_u64_e64 v[8:9], v[0:1], s[8:9]
	v_mad_u32 v7, s23, s16, v7
	v_lshlrev_b64_e32 v[0:1], 4, v[2:3]
	s_mul_u64 s[16:17], s[4:5], s[10:11]
	s_mul_u64 s[20:21], s[20:21], s[10:11]
	v_add_nc_u64_e32 v[4:5], s[6:7], v[4:5]
	s_mov_b64 s[22:23], s[14:15]
	v_add_nc_u64_e32 v[8:9], s[8:9], v[8:9]
	s_delay_alu instid0(VALU_DEP_2)
	v_add_nc_u64_e32 v[4:5], 8, v[4:5]
	v_sub_nc_u64_e64 v[6:7], v[6:7], s[24:25]
	s_branch .LBB0_3
.LBB0_2:                                ;   in Loop: Header=BB0_3 Depth=1
	s_wait_xcnt 0x0
	s_or_b32 exec_lo, exec_lo, s28
	s_add_nc_u64 s[22:23], s[22:23], s[10:11]
	v_sub_nc_u64_e64 v[6:7], v[6:7], s[16:17]
	v_cmp_ge_i64_e64 s14, s[22:23], s[12:13]
	v_add_nc_u64_e32 v[4:5], s[20:21], v[4:5]
	s_and_b32 vcc_lo, exec_lo, s14
	s_cbranch_vccnz .LBB0_14
.LBB0_3:                                ; =>This Loop Header: Depth=1
                                        ;     Child Loop BB0_6 Depth 2
	s_mul_u64 s[24:25], s[22:23], s[4:5]
	s_mul_u64 s[26:27], s[22:23], s[18:19]
	s_add_nc_u64 s[24:25], s[8:9], s[24:25]
	s_and_b32 vcc_lo, exec_lo, s1
	s_add_nc_u64 s[26:27], s[6:7], s[26:27]
	s_cbranch_vccz .LBB0_10
; %bb.4:                                ;   in Loop: Header=BB0_3 Depth=1
	s_add_nc_u64 s[28:29], s[24:25], 15
	s_delay_alu instid0(SALU_CYCLE_1) | instskip(NEXT) | instid1(SALU_CYCLE_1)
	s_ashr_i32 s14, s29, 31
	s_lshr_b32 s14, s14, 28
	s_delay_alu instid0(SALU_CYCLE_1) | instskip(NEXT) | instid1(SALU_CYCLE_1)
	s_add_nc_u64 s[28:29], s[28:29], s[14:15]
	s_and_b64 s[34:35], s[28:29], -16
	s_delay_alu instid0(SALU_CYCLE_1) | instskip(NEXT) | instid1(SALU_CYCLE_1)
	s_sub_nc_u64 s[30:31], s[34:35], s[24:25]
	s_sub_nc_u64 s[28:29], s[4:5], s[30:31]
	s_delay_alu instid0(SALU_CYCLE_1) | instskip(NEXT) | instid1(SALU_CYCLE_1)
	s_ashr_i32 s14, s29, 31
	s_lshr_b32 s14, s14, 28
	s_delay_alu instid0(SALU_CYCLE_1) | instskip(NEXT) | instid1(SALU_CYCLE_1)
	s_add_nc_u64 s[28:29], s[28:29], s[14:15]
	s_and_b32 s28, s28, -16
	s_delay_alu instid0(SALU_CYCLE_1)
	v_cmp_gt_i64_e32 vcc_lo, s[28:29], v[0:1]
	s_add_nc_u64 s[28:29], s[28:29], s[30:31]
	s_and_saveexec_b32 s14, vcc_lo
	s_cbranch_execz .LBB0_7
; %bb.5:                                ;   in Loop: Header=BB0_3 Depth=1
	v_add_nc_u64_e32 v[10:11], s[34:35], v[6:7]
	v_add_nc_u64_e32 v[12:13], s[34:35], v[4:5]
	;; [unrolled: 1-line block ×3, first 2 shown]
	s_mov_b64 s[34:35], 0
	s_mov_b32 s33, 0
.LBB0_6:                                ;   Parent Loop BB0_3 Depth=1
                                        ; =>  This Inner Loop Header: Depth=2
	s_delay_alu instid0(VALU_DEP_2) | instskip(NEXT) | instid1(VALU_DEP_2)
	v_add_nc_u64_e32 v[16:17], s[34:35], v[12:13]
	v_add_nc_u64_e32 v[20:21], s[34:35], v[14:15]
	s_add_nc_u64 s[34:35], s[34:35], s[2:3]
	s_delay_alu instid0(SALU_CYCLE_1)
	v_add_nc_u64_e32 v[22:23], s[34:35], v[10:11]
	flat_load_b128 v[16:19], v[16:17] offset:-8
	v_cmp_le_i64_e32 vcc_lo, s[28:29], v[22:23]
	s_or_b32 s33, vcc_lo, s33
	s_wait_loadcnt_dscnt 0x0
	flat_store_b128 v[20:21], v[16:19]
	s_wait_xcnt 0x0
	s_and_not1_b32 exec_lo, exec_lo, s33
	s_cbranch_execnz .LBB0_6
.LBB0_7:                                ;   in Loop: Header=BB0_3 Depth=1
	s_or_b32 exec_lo, exec_lo, s14
	v_cmp_gt_i64_e32 vcc_lo, s[30:31], v[2:3]
	s_and_b32 s30, s0, vcc_lo
	s_delay_alu instid0(SALU_CYCLE_1)
	s_and_saveexec_b32 s14, s30
	s_cbranch_execz .LBB0_9
; %bb.8:                                ;   in Loop: Header=BB0_3 Depth=1
	v_add_nc_u64_e32 v[10:11], s[26:27], v[2:3]
	flat_load_u8 v12, v[10:11]
	s_wait_xcnt 0x0
	v_add_nc_u64_e32 v[10:11], s[24:25], v[2:3]
	s_wait_loadcnt_dscnt 0x0
	flat_store_b8 v[10:11], v12
.LBB0_9:                                ;   in Loop: Header=BB0_3 Depth=1
	s_wait_xcnt 0x0
	s_or_b32 exec_lo, exec_lo, s14
	v_add_nc_u64_e32 v[10:11], s[28:29], v[2:3]
	s_delay_alu instid0(VALU_DEP_1)
	v_cmp_gt_i64_e64 s14, s[4:5], v[10:11]
	s_branch .LBB0_12
.LBB0_10:                               ;   in Loop: Header=BB0_3 Depth=1
	s_mov_b32 s14, 0
                                        ; implicit-def: $vgpr10_vgpr11
	s_cbranch_execz .LBB0_12
; %bb.11:                               ;   in Loop: Header=BB0_3 Depth=1
	v_mov_b64_e32 v[10:11], v[2:3]
	s_and_not1_b32 s14, s14, exec_lo
	s_and_b32 s28, s0, exec_lo
	s_delay_alu instid0(SALU_CYCLE_1)
	s_or_b32 s14, s14, s28
.LBB0_12:                               ;   in Loop: Header=BB0_3 Depth=1
	s_delay_alu instid0(VALU_DEP_1) | instid1(SALU_CYCLE_1)
	s_and_saveexec_b32 s28, s14
	s_cbranch_execz .LBB0_2
; %bb.13:                               ;   in Loop: Header=BB0_3 Depth=1
	s_delay_alu instid0(VALU_DEP_1)
	v_add_nc_u64_e32 v[12:13], s[26:27], v[10:11]
	v_add_nc_u64_e32 v[10:11], s[24:25], v[10:11]
	flat_load_u8 v12, v[12:13]
	s_wait_loadcnt_dscnt 0x0
	flat_store_b8 v[10:11], v12
	s_branch .LBB0_2
.LBB0_14:
	s_endpgm
	.section	.rodata,"a",@progbits
	.p2align	6, 0x0
	.amdhsa_kernel _ZN2at6native6detailL51split_with_sizes_copy_out_contiguous_no_cast_kernelEPPcS3_PlS4_S4_ll
		.amdhsa_group_segment_fixed_size 0
		.amdhsa_private_segment_fixed_size 0
		.amdhsa_kernarg_size 312
		.amdhsa_user_sgpr_count 2
		.amdhsa_user_sgpr_dispatch_ptr 0
		.amdhsa_user_sgpr_queue_ptr 0
		.amdhsa_user_sgpr_kernarg_segment_ptr 1
		.amdhsa_user_sgpr_dispatch_id 0
		.amdhsa_user_sgpr_kernarg_preload_length 0
		.amdhsa_user_sgpr_kernarg_preload_offset 0
		.amdhsa_user_sgpr_private_segment_size 0
		.amdhsa_wavefront_size32 1
		.amdhsa_uses_dynamic_stack 0
		.amdhsa_enable_private_segment 0
		.amdhsa_system_sgpr_workgroup_id_x 1
		.amdhsa_system_sgpr_workgroup_id_y 1
		.amdhsa_system_sgpr_workgroup_id_z 0
		.amdhsa_system_sgpr_workgroup_info 0
		.amdhsa_system_vgpr_workitem_id 0
		.amdhsa_next_free_vgpr 24
		.amdhsa_next_free_sgpr 36
		.amdhsa_named_barrier_count 0
		.amdhsa_reserve_vcc 1
		.amdhsa_float_round_mode_32 0
		.amdhsa_float_round_mode_16_64 0
		.amdhsa_float_denorm_mode_32 3
		.amdhsa_float_denorm_mode_16_64 3
		.amdhsa_fp16_overflow 0
		.amdhsa_memory_ordered 1
		.amdhsa_forward_progress 1
		.amdhsa_inst_pref_size 7
		.amdhsa_round_robin_scheduling 0
		.amdhsa_exception_fp_ieee_invalid_op 0
		.amdhsa_exception_fp_denorm_src 0
		.amdhsa_exception_fp_ieee_div_zero 0
		.amdhsa_exception_fp_ieee_overflow 0
		.amdhsa_exception_fp_ieee_underflow 0
		.amdhsa_exception_fp_ieee_inexact 0
		.amdhsa_exception_int_div_zero 0
	.end_amdhsa_kernel
	.section	.text._ZN2at6native6detailL51split_with_sizes_copy_out_contiguous_no_cast_kernelEPPcS3_PlS4_S4_ll,"axG",@progbits,_ZN2at6native6detailL51split_with_sizes_copy_out_contiguous_no_cast_kernelEPPcS3_PlS4_S4_ll,comdat
.Lfunc_end0:
	.size	_ZN2at6native6detailL51split_with_sizes_copy_out_contiguous_no_cast_kernelEPPcS3_PlS4_S4_ll, .Lfunc_end0-_ZN2at6native6detailL51split_with_sizes_copy_out_contiguous_no_cast_kernelEPPcS3_PlS4_S4_ll
                                        ; -- End function
	.set _ZN2at6native6detailL51split_with_sizes_copy_out_contiguous_no_cast_kernelEPPcS3_PlS4_S4_ll.num_vgpr, 24
	.set _ZN2at6native6detailL51split_with_sizes_copy_out_contiguous_no_cast_kernelEPPcS3_PlS4_S4_ll.num_agpr, 0
	.set _ZN2at6native6detailL51split_with_sizes_copy_out_contiguous_no_cast_kernelEPPcS3_PlS4_S4_ll.numbered_sgpr, 36
	.set _ZN2at6native6detailL51split_with_sizes_copy_out_contiguous_no_cast_kernelEPPcS3_PlS4_S4_ll.num_named_barrier, 0
	.set _ZN2at6native6detailL51split_with_sizes_copy_out_contiguous_no_cast_kernelEPPcS3_PlS4_S4_ll.private_seg_size, 0
	.set _ZN2at6native6detailL51split_with_sizes_copy_out_contiguous_no_cast_kernelEPPcS3_PlS4_S4_ll.uses_vcc, 1
	.set _ZN2at6native6detailL51split_with_sizes_copy_out_contiguous_no_cast_kernelEPPcS3_PlS4_S4_ll.uses_flat_scratch, 0
	.set _ZN2at6native6detailL51split_with_sizes_copy_out_contiguous_no_cast_kernelEPPcS3_PlS4_S4_ll.has_dyn_sized_stack, 0
	.set _ZN2at6native6detailL51split_with_sizes_copy_out_contiguous_no_cast_kernelEPPcS3_PlS4_S4_ll.has_recursion, 0
	.set _ZN2at6native6detailL51split_with_sizes_copy_out_contiguous_no_cast_kernelEPPcS3_PlS4_S4_ll.has_indirect_call, 0
	.section	.AMDGPU.csdata,"",@progbits
; Kernel info:
; codeLenInByte = 836
; TotalNumSgprs: 38
; NumVgprs: 24
; ScratchSize: 0
; MemoryBound: 0
; FloatMode: 240
; IeeeMode: 1
; LDSByteSize: 0 bytes/workgroup (compile time only)
; SGPRBlocks: 0
; VGPRBlocks: 1
; NumSGPRsForWavesPerEU: 38
; NumVGPRsForWavesPerEU: 24
; NamedBarCnt: 0
; Occupancy: 16
; WaveLimiterHint : 1
; COMPUTE_PGM_RSRC2:SCRATCH_EN: 0
; COMPUTE_PGM_RSRC2:USER_SGPR: 2
; COMPUTE_PGM_RSRC2:TRAP_HANDLER: 0
; COMPUTE_PGM_RSRC2:TGID_X_EN: 1
; COMPUTE_PGM_RSRC2:TGID_Y_EN: 1
; COMPUTE_PGM_RSRC2:TGID_Z_EN: 0
; COMPUTE_PGM_RSRC2:TIDIG_COMP_CNT: 0
	.section	.text._ZN2at6native6detailL21chunk_cat_cuda_kernelIccEEvPPT0_PT_PlS8_S8_S8_S8_S8_lll,"axG",@progbits,_ZN2at6native6detailL21chunk_cat_cuda_kernelIccEEvPPT0_PT_PlS8_S8_S8_S8_S8_lll,comdat
	.globl	_ZN2at6native6detailL21chunk_cat_cuda_kernelIccEEvPPT0_PT_PlS8_S8_S8_S8_S8_lll ; -- Begin function _ZN2at6native6detailL21chunk_cat_cuda_kernelIccEEvPPT0_PT_PlS8_S8_S8_S8_S8_lll
	.p2align	8
	.type	_ZN2at6native6detailL21chunk_cat_cuda_kernelIccEEvPPT0_PT_PlS8_S8_S8_S8_S8_lll,@function
_ZN2at6native6detailL21chunk_cat_cuda_kernelIccEEvPPT0_PT_PlS8_S8_S8_S8_S8_lll: ; @_ZN2at6native6detailL21chunk_cat_cuda_kernelIccEEvPPT0_PT_PlS8_S8_S8_S8_S8_lll
; %bb.0:
	s_load_b512 s[4:19], s[0:1], 0x0
	s_bfe_u32 s2, ttmp6, 0x4000c
	s_bfe_u32 s20, ttmp6, 0x40010
	s_add_co_i32 s2, s2, 1
	s_and_b32 s3, ttmp6, 15
	s_mul_i32 s2, ttmp9, s2
	s_and_b32 s21, ttmp7, 0xffff
	s_add_co_i32 s20, s20, 1
	s_add_co_i32 s3, s3, s2
	s_mul_i32 s2, s21, s20
	s_bfe_u32 s20, ttmp6, 0x40004
	s_getreg_b32 s33, hwreg(HW_REG_IB_STS2, 6, 4)
	s_add_co_i32 s22, s20, s2
	s_cmp_eq_u32 s33, 0
	s_cselect_b32 s20, ttmp9, s3
	s_cselect_b32 s22, s21, s22
	s_mov_b32 s21, 0
	s_delay_alu instid0(SALU_CYCLE_1) | instskip(SKIP_4) | instid1(SALU_CYCLE_1)
	s_mov_b32 s23, s21
	s_wait_kmcnt 0x0
	s_load_b64 s[2:3], s[8:9], s20 offset:0x0 scale_offset
	s_wait_kmcnt 0x0
	s_lshl_b64 s[26:27], s[2:3], 3
	s_add_nc_u64 s[2:3], s[16:17], s[26:27]
	s_load_b64 s[8:9], s[2:3], 0x0
	s_load_b64 s[16:17], s[0:1], 0x50
	s_wait_kmcnt 0x0
	s_mul_u64 s[28:29], s[8:9], s[22:23]
	s_delay_alu instid0(SALU_CYCLE_1) | instskip(NEXT) | instid1(SALU_CYCLE_1)
	s_or_b64 s[2:3], s[28:29], s[16:17]
	s_and_b64 s[2:3], s[2:3], 0xffffffff00000000
	s_delay_alu instid0(SALU_CYCLE_1)
	s_cmp_lg_u64 s[2:3], 0
	s_cbranch_scc0 .LBB1_5
; %bb.1:
	s_ashr_i32 s2, s17, 31
	s_mov_b32 s37, s21
	s_mov_b32 s3, s2
	;; [unrolled: 1-line block ×3, first 2 shown]
	s_add_nc_u64 s[24:25], s[16:17], s[2:3]
	s_delay_alu instid0(SALU_CYCLE_1) | instskip(NEXT) | instid1(SALU_CYCLE_1)
	s_xor_b64 s[24:25], s[24:25], s[2:3]
	s_cvt_f32_u32 s30, s24
	s_cvt_f32_u32 s31, s25
	s_sub_nc_u64 s[34:35], 0, s[24:25]
	s_delay_alu instid0(SALU_CYCLE_2) | instskip(NEXT) | instid1(SALU_CYCLE_3)
	s_fmamk_f32 s30, s31, 0x4f800000, s30
	v_s_rcp_f32 s30, s30
	s_delay_alu instid0(TRANS32_DEP_1) | instskip(NEXT) | instid1(SALU_CYCLE_3)
	s_mul_f32 s30, s30, 0x5f7ffffc
	s_mul_f32 s31, s30, 0x2f800000
	s_delay_alu instid0(SALU_CYCLE_3) | instskip(NEXT) | instid1(SALU_CYCLE_3)
	s_trunc_f32 s31, s31
	s_fmamk_f32 s30, s31, 0xcf800000, s30
	s_cvt_u32_f32 s31, s31
	s_delay_alu instid0(SALU_CYCLE_2) | instskip(NEXT) | instid1(SALU_CYCLE_3)
	s_cvt_u32_f32 s30, s30
	s_mul_u64 s[38:39], s[34:35], s[30:31]
	s_delay_alu instid0(SALU_CYCLE_1)
	s_mul_hi_u32 s43, s30, s39
	s_mul_i32 s42, s30, s39
	s_mul_hi_u32 s36, s30, s38
	s_mul_i32 s44, s31, s38
	s_add_nc_u64 s[36:37], s[36:37], s[42:43]
	s_mul_hi_u32 s40, s31, s38
	s_mul_hi_u32 s45, s31, s39
	s_add_co_u32 s36, s36, s44
	s_add_co_ci_u32 s40, s37, s40
	s_mul_i32 s38, s31, s39
	s_add_co_ci_u32 s39, s45, 0
	s_delay_alu instid0(SALU_CYCLE_1) | instskip(SKIP_3) | instid1(SALU_CYCLE_1)
	s_add_nc_u64 s[36:37], s[40:41], s[38:39]
	s_mov_b32 s39, s21
	s_add_co_u32 s30, s30, s36
	s_cselect_b32 s36, -1, 0
	s_cmp_lg_u32 s36, 0
	s_add_co_ci_u32 s31, s31, s37
	s_mov_b32 s37, s21
	s_mul_u64 s[34:35], s[34:35], s[30:31]
	s_delay_alu instid0(SALU_CYCLE_1)
	s_mul_hi_u32 s41, s30, s35
	s_mul_i32 s40, s30, s35
	s_mul_hi_u32 s36, s30, s34
	s_mul_i32 s42, s31, s34
	s_add_nc_u64 s[36:37], s[36:37], s[40:41]
	s_mul_hi_u32 s38, s31, s34
	s_mul_hi_u32 s43, s31, s35
	s_mul_i32 s34, s31, s35
	s_add_co_u32 s35, s36, s42
	s_add_co_ci_u32 s38, s37, s38
	s_add_co_ci_u32 s35, s43, 0
	s_mov_b32 s37, s21
	s_add_nc_u64 s[34:35], s[38:39], s[34:35]
	s_delay_alu instid0(SALU_CYCLE_1) | instskip(SKIP_1) | instid1(SALU_CYCLE_1)
	s_add_co_u32 s38, s30, s34
	s_cselect_b32 s30, -1, 0
	s_cmp_lg_u32 s30, 0
	s_add_co_ci_u32 s42, s31, s35
	s_ashr_i32 s30, s29, 31
	s_delay_alu instid0(SALU_CYCLE_1) | instskip(NEXT) | instid1(SALU_CYCLE_1)
	s_mov_b32 s31, s30
	s_add_nc_u64 s[34:35], s[28:29], s[30:31]
	s_delay_alu instid0(SALU_CYCLE_1) | instskip(NEXT) | instid1(SALU_CYCLE_1)
	s_xor_b64 s[34:35], s[34:35], s[30:31]
	s_mul_hi_u32 s41, s34, s42
	s_mul_i32 s40, s34, s42
	s_mul_hi_u32 s36, s34, s38
	s_mul_hi_u32 s43, s35, s38
	s_mul_i32 s38, s35, s38
	s_add_nc_u64 s[36:37], s[36:37], s[40:41]
	s_mul_hi_u32 s29, s35, s42
	s_add_co_u32 s36, s36, s38
	s_add_co_ci_u32 s38, s37, s43
	s_mul_i32 s40, s35, s42
	s_add_co_ci_u32 s41, s29, 0
	s_delay_alu instid0(SALU_CYCLE_1) | instskip(NEXT) | instid1(SALU_CYCLE_1)
	s_add_nc_u64 s[36:37], s[38:39], s[40:41]
	s_and_b64 s[38:39], s[36:37], 0xffffffff00000000
	s_delay_alu instid0(SALU_CYCLE_1) | instskip(NEXT) | instid1(SALU_CYCLE_1)
	s_or_b32 s38, s38, s36
	s_mul_u64 s[36:37], s[24:25], s[38:39]
	s_delay_alu instid0(SALU_CYCLE_1)
	s_sub_co_u32 s29, s34, s36
	s_cselect_b32 s34, -1, 0
	s_sub_co_i32 s36, s35, s37
	s_cmp_lg_u32 s34, 0
	s_sub_co_ci_u32 s36, s36, s25
	s_sub_co_u32 s40, s29, s24
	s_cselect_b32 s41, -1, 0
	s_delay_alu instid0(SALU_CYCLE_1) | instskip(SKIP_1) | instid1(SALU_CYCLE_1)
	s_cmp_lg_u32 s41, 0
	s_sub_co_ci_u32 s36, s36, 0
	s_cmp_ge_u32 s36, s25
	s_cselect_b32 s42, -1, 0
	s_cmp_ge_u32 s40, s24
	s_add_nc_u64 s[40:41], s[38:39], 1
	s_cselect_b32 s43, -1, 0
	s_cmp_eq_u32 s36, s25
	s_cselect_b32 s36, s43, s42
	s_add_nc_u64 s[42:43], s[38:39], 2
	s_cmp_lg_u32 s36, 0
	s_cselect_b32 s36, s42, s40
	s_cselect_b32 s40, s43, s41
	s_cmp_lg_u32 s34, 0
	s_sub_co_ci_u32 s34, s35, s37
	s_delay_alu instid0(SALU_CYCLE_1)
	s_cmp_ge_u32 s34, s25
	s_cselect_b32 s35, -1, 0
	s_cmp_ge_u32 s29, s24
	s_mov_b32 s29, s21
	s_cselect_b32 s24, -1, 0
	s_cmp_eq_u32 s34, s25
	s_cselect_b32 s24, s24, s35
	s_delay_alu instid0(SALU_CYCLE_1) | instskip(SKIP_3) | instid1(SALU_CYCLE_1)
	s_cmp_lg_u32 s24, 0
	s_cselect_b32 s25, s40, s39
	s_cselect_b32 s24, s36, s38
	s_xor_b64 s[2:3], s[30:31], s[2:3]
	s_xor_b64 s[24:25], s[24:25], s[2:3]
	s_delay_alu instid0(SALU_CYCLE_1)
	s_sub_nc_u64 s[24:25], s[24:25], s[2:3]
	s_load_b128 s[0:3], s[0:1], 0x40
	v_cvt_f32_u32_e32 v1, s16
	s_and_not1_b32 vcc_lo, exec_lo, s29
	s_cbranch_vccnz .LBB1_3
.LBB1_2:
	s_delay_alu instid0(VALU_DEP_1) | instskip(SKIP_2) | instid1(TRANS32_DEP_1)
	v_rcp_iflag_f32_e32 v2, v1
	s_sub_co_i32 s25, 0, s16
	v_nop
	v_mul_f32_e32 v2, 0x4f7ffffe, v2
	s_delay_alu instid0(VALU_DEP_1) | instskip(NEXT) | instid1(VALU_DEP_1)
	v_cvt_u32_f32_e32 v2, v2
	v_readfirstlane_b32 s24, v2
	s_mul_i32 s25, s25, s24
	s_delay_alu instid0(SALU_CYCLE_1) | instskip(NEXT) | instid1(SALU_CYCLE_1)
	s_mul_hi_u32 s25, s24, s25
	s_add_co_i32 s24, s24, s25
	s_delay_alu instid0(SALU_CYCLE_1) | instskip(NEXT) | instid1(SALU_CYCLE_1)
	s_mul_hi_u32 s24, s28, s24
	s_mul_i32 s25, s24, s16
	s_delay_alu instid0(SALU_CYCLE_1)
	s_sub_co_i32 s25, s28, s25
	s_add_co_i32 s28, s24, 1
	s_sub_co_i32 s29, s25, s16
	s_cmp_ge_u32 s25, s16
	s_cselect_b32 s24, s28, s24
	s_cselect_b32 s25, s29, s25
	s_add_co_i32 s28, s24, 1
	s_cmp_ge_u32 s25, s16
	s_mov_b32 s25, 0
	s_cselect_b32 s24, s28, s24
.LBB1_3:
	s_or_b64 s[30:31], s[8:9], s[16:17]
	s_add_nc_u64 s[12:13], s[12:13], s[26:27]
	s_and_b64 s[30:31], s[30:31], 0xffffffff00000000
	s_add_nc_u64 s[18:19], s[18:19], s[26:27]
	s_add_nc_u64 s[28:29], s[4:5], s[26:27]
	;; [unrolled: 1-line block ×3, first 2 shown]
	s_cmp_lg_u64 s[30:31], 0
	s_add_nc_u64 s[10:11], s[10:11], s[26:27]
	s_cbranch_scc0 .LBB1_6
; %bb.4:
	s_ashr_i32 s14, s17, 31
	s_mov_b32 s37, 0
	s_mov_b32 s15, s14
	s_delay_alu instid0(SALU_CYCLE_1) | instskip(NEXT) | instid1(SALU_CYCLE_1)
	s_add_nc_u64 s[26:27], s[16:17], s[14:15]
	s_xor_b64 s[26:27], s[26:27], s[14:15]
	s_delay_alu instid0(SALU_CYCLE_1) | instskip(SKIP_2) | instid1(SALU_CYCLE_2)
	s_cvt_f32_u32 s17, s26
	s_cvt_f32_u32 s30, s27
	s_sub_nc_u64 s[34:35], 0, s[26:27]
	s_fmamk_f32 s17, s30, 0x4f800000, s17
	s_delay_alu instid0(SALU_CYCLE_3) | instskip(NEXT) | instid1(TRANS32_DEP_1)
	v_s_rcp_f32 s17, s17
	s_mul_f32 s17, s17, 0x5f7ffffc
	s_delay_alu instid0(SALU_CYCLE_3) | instskip(NEXT) | instid1(SALU_CYCLE_3)
	s_mul_f32 s30, s17, 0x2f800000
	s_trunc_f32 s30, s30
	s_delay_alu instid0(SALU_CYCLE_3) | instskip(SKIP_1) | instid1(SALU_CYCLE_2)
	s_fmamk_f32 s17, s30, 0xcf800000, s17
	s_cvt_u32_f32 s31, s30
	s_cvt_u32_f32 s30, s17
	s_delay_alu instid0(SALU_CYCLE_3) | instskip(NEXT) | instid1(SALU_CYCLE_1)
	s_mul_u64 s[38:39], s[34:35], s[30:31]
	s_mul_hi_u32 s41, s30, s39
	s_mul_i32 s40, s30, s39
	s_mul_hi_u32 s36, s30, s38
	s_mul_i32 s42, s31, s38
	s_add_nc_u64 s[40:41], s[36:37], s[40:41]
	s_mul_hi_u32 s17, s31, s38
	s_mul_hi_u32 s43, s31, s39
	s_add_co_u32 s36, s40, s42
	s_add_co_ci_u32 s36, s41, s17
	s_mul_i32 s38, s31, s39
	s_add_co_ci_u32 s39, s43, 0
	s_delay_alu instid0(SALU_CYCLE_1) | instskip(NEXT) | instid1(SALU_CYCLE_1)
	s_add_nc_u64 s[38:39], s[36:37], s[38:39]
	s_add_co_u32 s30, s30, s38
	s_cselect_b32 s17, -1, 0
	s_delay_alu instid0(SALU_CYCLE_1) | instskip(SKIP_1) | instid1(SALU_CYCLE_1)
	s_cmp_lg_u32 s17, 0
	s_add_co_ci_u32 s31, s31, s39
	s_mul_u64 s[34:35], s[34:35], s[30:31]
	s_delay_alu instid0(SALU_CYCLE_1)
	s_mul_hi_u32 s39, s30, s35
	s_mul_i32 s38, s30, s35
	s_mul_hi_u32 s36, s30, s34
	s_mul_i32 s40, s31, s34
	s_add_nc_u64 s[38:39], s[36:37], s[38:39]
	s_mul_hi_u32 s17, s31, s34
	s_mul_hi_u32 s41, s31, s35
	s_mul_i32 s34, s31, s35
	s_add_co_u32 s35, s38, s40
	s_add_co_ci_u32 s36, s39, s17
	s_add_co_ci_u32 s35, s41, 0
	s_delay_alu instid0(SALU_CYCLE_1) | instskip(NEXT) | instid1(SALU_CYCLE_1)
	s_add_nc_u64 s[34:35], s[36:37], s[34:35]
	s_add_co_u32 s17, s30, s34
	s_cselect_b32 s30, -1, 0
	s_delay_alu instid0(SALU_CYCLE_1) | instskip(SKIP_2) | instid1(SALU_CYCLE_1)
	s_cmp_lg_u32 s30, 0
	s_add_co_ci_u32 s40, s31, s35
	s_ashr_i32 s30, s9, 31
	s_mov_b32 s31, s30
	s_delay_alu instid0(SALU_CYCLE_1) | instskip(NEXT) | instid1(SALU_CYCLE_1)
	s_add_nc_u64 s[34:35], s[8:9], s[30:31]
	s_xor_b64 s[34:35], s[34:35], s[30:31]
	s_delay_alu instid0(SALU_CYCLE_1)
	s_mul_hi_u32 s39, s34, s40
	s_mul_i32 s38, s34, s40
	s_mul_hi_u32 s36, s34, s17
	s_mul_hi_u32 s42, s35, s17
	s_mul_i32 s17, s35, s17
	s_add_nc_u64 s[38:39], s[36:37], s[38:39]
	s_mul_hi_u32 s41, s35, s40
	s_add_co_u32 s17, s38, s17
	s_add_co_ci_u32 s36, s39, s42
	s_mul_i32 s40, s35, s40
	s_add_co_ci_u32 s41, s41, 0
	s_delay_alu instid0(SALU_CYCLE_1) | instskip(NEXT) | instid1(SALU_CYCLE_1)
	s_add_nc_u64 s[38:39], s[36:37], s[40:41]
	s_and_b64 s[40:41], s[38:39], 0xffffffff00000000
	s_delay_alu instid0(SALU_CYCLE_1) | instskip(NEXT) | instid1(SALU_CYCLE_1)
	s_or_b32 s40, s40, s38
	s_mul_u64 s[38:39], s[26:27], s[40:41]
	s_delay_alu instid0(SALU_CYCLE_1)
	s_sub_co_u32 s17, s34, s38
	s_cselect_b32 s34, -1, 0
	s_sub_co_i32 s36, s35, s39
	s_cmp_lg_u32 s34, 0
	s_sub_co_ci_u32 s36, s36, s27
	s_sub_co_u32 s38, s17, s26
	s_cselect_b32 s42, -1, 0
	s_delay_alu instid0(SALU_CYCLE_1) | instskip(SKIP_2) | instid1(SALU_CYCLE_1)
	s_cmp_lg_u32 s42, 0
	s_add_nc_u64 s[42:43], s[40:41], 1
	s_sub_co_ci_u32 s36, s36, 0
	s_cmp_ge_u32 s36, s27
	s_cselect_b32 s44, -1, 0
	s_cmp_ge_u32 s38, s26
	s_cselect_b32 s38, -1, 0
	s_cmp_eq_u32 s36, s27
	s_cselect_b32 s36, s38, s44
	s_add_nc_u64 s[44:45], s[40:41], 2
	s_cmp_lg_u32 s36, 0
	s_cselect_b32 s36, s44, s42
	s_cselect_b32 s38, s45, s43
	s_cmp_lg_u32 s34, 0
	s_sub_co_ci_u32 s34, s35, s39
	s_delay_alu instid0(SALU_CYCLE_1)
	s_cmp_ge_u32 s34, s27
	s_cselect_b32 s35, -1, 0
	s_cmp_ge_u32 s17, s26
	s_cselect_b32 s17, -1, 0
	s_cmp_eq_u32 s34, s27
	s_cselect_b32 s17, s17, s35
	s_delay_alu instid0(SALU_CYCLE_1) | instskip(SKIP_3) | instid1(SALU_CYCLE_1)
	s_cmp_lg_u32 s17, 0
	s_cselect_b32 s27, s38, s41
	s_cselect_b32 s26, s36, s40
	s_xor_b64 s[14:15], s[30:31], s[14:15]
	s_xor_b64 s[26:27], s[26:27], s[14:15]
	s_delay_alu instid0(SALU_CYCLE_1)
	s_sub_nc_u64 s[40:41], s[26:27], s[14:15]
	s_branch .LBB1_7
.LBB1_5:
                                        ; implicit-def: $sgpr24_sgpr25
	s_load_b128 s[0:3], s[0:1], 0x40
	v_cvt_f32_u32_e32 v1, s16
	s_branch .LBB1_2
.LBB1_6:
	s_mov_b32 s37, -1
                                        ; implicit-def: $sgpr40_sgpr41
.LBB1_7:
	s_load_b64 s[30:31], s[12:13], 0x0
	s_load_b64 s[14:15], s[18:19], 0x0
	;; [unrolled: 1-line block ×5, first 2 shown]
	s_and_not1_b32 vcc_lo, exec_lo, s37
	s_cbranch_vccnz .LBB1_9
; %bb.8:
	v_rcp_iflag_f32_e32 v1, v1
	s_wait_xcnt 0x0
	s_sub_co_i32 s5, 0, s16
	s_mov_b32 s41, 0
	v_nop
	s_delay_alu instid0(TRANS32_DEP_1) | instskip(NEXT) | instid1(VALU_DEP_1)
	v_mul_f32_e32 v1, 0x4f7ffffe, v1
	v_cvt_u32_f32_e32 v1, v1
	s_delay_alu instid0(VALU_DEP_1) | instskip(SKIP_1) | instid1(SALU_CYCLE_1)
	v_readfirstlane_b32 s4, v1
	s_mul_i32 s5, s5, s4
	s_mul_hi_u32 s5, s4, s5
	s_delay_alu instid0(SALU_CYCLE_1) | instskip(NEXT) | instid1(SALU_CYCLE_1)
	s_add_co_i32 s4, s4, s5
	s_mul_hi_u32 s4, s8, s4
	s_delay_alu instid0(SALU_CYCLE_1) | instskip(SKIP_2) | instid1(SALU_CYCLE_1)
	s_mul_i32 s5, s4, s16
	s_add_co_i32 s10, s4, 1
	s_sub_co_i32 s5, s8, s5
	s_sub_co_i32 s11, s5, s16
	s_cmp_ge_u32 s5, s16
	s_cselect_b32 s4, s10, s4
	s_cselect_b32 s5, s11, s5
	s_add_co_i32 s10, s4, 1
	s_cmp_ge_u32 s5, s16
	s_cselect_b32 s40, s10, s4
.LBB1_9:
	s_wait_kmcnt 0x0
	s_sub_nc_u64 s[4:5], s[38:39], s[24:25]
	s_bfe_u32 s10, ttmp6, 0x40008
	v_max_i64 v[2:3], s[4:5], 0
	s_bfe_u32 s5, ttmp6, 0x40014
	s_lshr_b32 s4, ttmp7, 16
	s_add_co_i32 s5, s5, 1
	v_mov_b32_e32 v1, 0
	s_mul_i32 s5, s4, s5
	s_mov_b32 s13, 0
	s_add_co_i32 s10, s10, s5
	s_cmp_eq_u32 s33, 0
	s_mul_u64 s[18:19], s[2:3], s[22:23]
	s_sub_nc_u64 s[2:3], s[20:21], s[30:31]
	s_cselect_b32 s12, s4, s10
	s_lshl_b64 s[4:5], s[14:15], 7
	s_lshl_b64 s[2:3], s[2:3], 7
	s_mul_u64 s[28:29], s[38:39], s[12:13]
	s_mul_u64 s[22:23], s[0:1], s[12:13]
	v_cmp_ge_i64_e64 s12, s[8:9], s[4:5]
	s_add_nc_u64 s[0:1], s[6:7], s[22:23]
	s_delay_alu instid0(SALU_CYCLE_1) | instskip(NEXT) | instid1(SALU_CYCLE_1)
	s_add_nc_u64 s[0:1], s[0:1], s[18:19]
	s_add_nc_u64 s[0:1], s[0:1], s[34:35]
	s_and_b32 vcc_lo, exec_lo, s12
	s_mov_b32 s12, -1
	v_min_i64 v[4:5], s[40:41], v[2:3]
	v_add_nc_u64_e32 v[2:3], s[2:3], v[0:1]
	s_add_nc_u64 s[2:3], s[26:27], s[28:29]
	s_delay_alu instid0(SALU_CYCLE_1) | instskip(NEXT) | instid1(VALU_DEP_2)
	s_add_nc_u64 s[2:3], s[2:3], s[24:25]
	v_readfirstlane_b32 s10, v4
	s_delay_alu instid0(VALU_DEP_3)
	v_readfirstlane_b32 s11, v5
	s_cbranch_vccz .LBB1_23
; %bb.10:
	s_add_nc_u64 s[16:17], s[0:1], 15
	v_lshlrev_b64_e32 v[4:5], 4, v[2:3]
	s_ashr_i32 s12, s17, 31
	s_delay_alu instid0(SALU_CYCLE_1) | instskip(NEXT) | instid1(SALU_CYCLE_1)
	s_lshr_b32 s12, s12, 28
	s_add_nc_u64 s[16:17], s[16:17], s[12:13]
	s_delay_alu instid0(SALU_CYCLE_1) | instskip(NEXT) | instid1(SALU_CYCLE_1)
	s_and_b64 s[36:37], s[16:17], -16
	s_sub_nc_u64 s[16:17], s[36:37], s[0:1]
	s_delay_alu instid0(SALU_CYCLE_1) | instskip(NEXT) | instid1(SALU_CYCLE_1)
	s_sub_nc_u64 s[38:39], s[10:11], s[16:17]
	s_ashr_i32 s12, s39, 31
	s_delay_alu instid0(SALU_CYCLE_1) | instskip(NEXT) | instid1(SALU_CYCLE_1)
	s_lshr_b32 s12, s12, 28
	s_add_nc_u64 s[12:13], s[38:39], s[12:13]
	s_delay_alu instid0(SALU_CYCLE_1) | instskip(NEXT) | instid1(SALU_CYCLE_1)
	s_and_b32 s12, s12, -16
	v_cmp_gt_i64_e32 vcc_lo, s[12:13], v[4:5]
	s_add_nc_u64 s[12:13], s[12:13], s[16:17]
	s_and_saveexec_b32 s33, vcc_lo
	s_cbranch_execz .LBB1_13
; %bb.11:
	s_add_nc_u64 s[24:25], s[24:25], s[28:29]
	s_lshl_b64 s[20:21], s[20:21], 11
	s_add_nc_u64 s[18:19], s[34:35], s[18:19]
	v_dual_mov_b32 v1, 0 :: v_dual_lshlrev_b32 v0, 4, v0
	s_add_nc_u64 s[20:21], s[24:25], s[20:21]
	s_add_nc_u64 s[18:19], s[18:19], s[22:23]
	;; [unrolled: 1-line block ×4, first 2 shown]
	v_add_nc_u64_e32 v[0:1], s[20:21], v[0:1]
	v_add_nc_u64_e32 v[6:7], s[18:19], v[4:5]
	s_lshl_b64 s[18:19], s[30:31], 11
	s_delay_alu instid0(VALU_DEP_2) | instskip(NEXT) | instid1(VALU_DEP_2)
	v_sub_nc_u64_e64 v[0:1], v[0:1], s[0:1]
	v_sub_nc_u64_e64 v[6:7], v[6:7], s[0:1]
	s_delay_alu instid0(VALU_DEP_2) | instskip(NEXT) | instid1(VALU_DEP_2)
	v_sub_nc_u64_e64 v[8:9], v[0:1], s[18:19]
	v_add_nc_u64_e32 v[6:7], s[6:7], v[6:7]
	v_add_nc_u64_e32 v[0:1], s[16:17], v[4:5]
	s_lshl_b64 s[6:7], s[14:15], 11
	s_mov_b64 s[14:15], 0
	s_mov_b32 s18, 0
	s_delay_alu instid0(VALU_DEP_3) | instskip(NEXT) | instid1(VALU_DEP_3)
	v_add_nc_u64_e32 v[4:5], s[26:27], v[8:9]
	v_add_nc_u64_e32 v[6:7], 8, v[6:7]
.LBB1_12:                               ; =>This Inner Loop Header: Depth=1
	s_delay_alu instid0(VALU_DEP_2) | instskip(SKIP_1) | instid1(VALU_DEP_3)
	v_add_nc_u64_e32 v[8:9], s[14:15], v[4:5]
	v_add_nc_u64_e32 v[0:1], s[6:7], v[0:1]
	;; [unrolled: 1-line block ×3, first 2 shown]
	s_add_nc_u64 s[14:15], s[14:15], s[6:7]
	flat_load_b128 v[8:11], v[8:9]
	v_cmp_le_i64_e32 vcc_lo, s[12:13], v[0:1]
	s_or_b32 s18, vcc_lo, s18
	s_wait_loadcnt_dscnt 0x0
	global_store_b128 v[12:13], v[8:11], off offset:-8
	s_wait_xcnt 0x0
	s_and_not1_b32 exec_lo, exec_lo, s18
	s_cbranch_execnz .LBB1_12
.LBB1_13:
	s_or_b32 exec_lo, exec_lo, s33
	v_min_i64 v[0:1], s[8:9], s[16:17]
	s_mov_b32 s6, exec_lo
	s_delay_alu instid0(VALU_DEP_1)
	v_cmpx_gt_i64_e64 v[0:1], v[2:3]
	s_cbranch_execz .LBB1_17
; %bb.14:
	v_mov_b32_e32 v0, 0
	s_mov_b32 s7, exec_lo
	v_cmpx_gt_i64_e64 s[10:11], v[2:3]
	s_cbranch_execz .LBB1_16
; %bb.15:
	v_add_nc_u64_e32 v[0:1], s[2:3], v[2:3]
	flat_load_u8 v0, v[0:1]
.LBB1_16:
	s_wait_xcnt 0x0
	s_or_b32 exec_lo, exec_lo, s7
	v_add_nc_u64_e32 v[4:5], s[0:1], v[2:3]
	s_wait_loadcnt_dscnt 0x0
	global_store_b8 v[4:5], v0, off
.LBB1_17:
	s_wait_xcnt 0x0
	s_or_b32 exec_lo, exec_lo, s6
	v_add_nc_u64_e32 v[0:1], s[12:13], v[2:3]
	s_mov_b32 s6, exec_lo
	s_delay_alu instid0(VALU_DEP_1)
	v_cmpx_gt_i64_e64 s[8:9], v[0:1]
	s_cbranch_execz .LBB1_22
; %bb.18:
	s_mov_b32 s7, 0
	s_branch .LBB1_20
.LBB1_19:                               ;   in Loop: Header=BB1_20 Depth=1
	s_wait_xcnt 0x0
	s_or_b32 exec_lo, exec_lo, s14
	s_add_nc_u64 s[12:13], s[12:13], s[4:5]
	v_add_nc_u64_e32 v[6:7], s[0:1], v[0:1]
	v_add_nc_u64_e32 v[0:1], s[12:13], v[2:3]
	s_wait_loadcnt_dscnt 0x0
	global_store_b8 v[6:7], v4, off
	v_cmp_le_i64_e32 vcc_lo, s[8:9], v[0:1]
	s_or_b32 s7, vcc_lo, s7
	s_wait_xcnt 0x0
	s_and_not1_b32 exec_lo, exec_lo, s7
	s_cbranch_execz .LBB1_22
.LBB1_20:                               ; =>This Inner Loop Header: Depth=1
	v_mov_b32_e32 v4, 0
	s_mov_b32 s14, exec_lo
	v_cmpx_gt_i64_e64 s[10:11], v[0:1]
	s_cbranch_execz .LBB1_19
; %bb.21:                               ;   in Loop: Header=BB1_20 Depth=1
	v_add_nc_u64_e32 v[4:5], s[2:3], v[0:1]
	flat_load_u8 v4, v[4:5]
	s_branch .LBB1_19
.LBB1_22:
	s_or_b32 exec_lo, exec_lo, s6
	s_mov_b32 s12, 0
.LBB1_23:
	s_delay_alu instid0(SALU_CYCLE_1)
	s_and_b32 vcc_lo, exec_lo, s12
	s_cbranch_vccz .LBB1_28
; %bb.24:
	v_mov_b32_e32 v0, 0
	s_mov_b32 s4, exec_lo
	v_cmpx_gt_i64_e64 s[10:11], v[2:3]
	s_cbranch_execz .LBB1_26
; %bb.25:
	v_add_nc_u64_e32 v[0:1], s[2:3], v[2:3]
	flat_load_u8 v0, v[0:1]
.LBB1_26:
	s_wait_xcnt 0x0
	s_or_b32 exec_lo, exec_lo, s4
	s_delay_alu instid0(SALU_CYCLE_1)
	s_mov_b32 s2, exec_lo
	v_cmpx_gt_i64_e64 s[8:9], v[2:3]
	s_cbranch_execz .LBB1_28
; %bb.27:
	v_add_nc_u64_e32 v[2:3], s[0:1], v[2:3]
	s_wait_loadcnt_dscnt 0x0
	global_store_b8 v[2:3], v0, off
.LBB1_28:
	s_endpgm
	.section	.rodata,"a",@progbits
	.p2align	6, 0x0
	.amdhsa_kernel _ZN2at6native6detailL21chunk_cat_cuda_kernelIccEEvPPT0_PT_PlS8_S8_S8_S8_S8_lll
		.amdhsa_group_segment_fixed_size 0
		.amdhsa_private_segment_fixed_size 0
		.amdhsa_kernarg_size 88
		.amdhsa_user_sgpr_count 2
		.amdhsa_user_sgpr_dispatch_ptr 0
		.amdhsa_user_sgpr_queue_ptr 0
		.amdhsa_user_sgpr_kernarg_segment_ptr 1
		.amdhsa_user_sgpr_dispatch_id 0
		.amdhsa_user_sgpr_kernarg_preload_length 0
		.amdhsa_user_sgpr_kernarg_preload_offset 0
		.amdhsa_user_sgpr_private_segment_size 0
		.amdhsa_wavefront_size32 1
		.amdhsa_uses_dynamic_stack 0
		.amdhsa_enable_private_segment 0
		.amdhsa_system_sgpr_workgroup_id_x 1
		.amdhsa_system_sgpr_workgroup_id_y 1
		.amdhsa_system_sgpr_workgroup_id_z 1
		.amdhsa_system_sgpr_workgroup_info 0
		.amdhsa_system_vgpr_workitem_id 0
		.amdhsa_next_free_vgpr 14
		.amdhsa_next_free_sgpr 46
		.amdhsa_named_barrier_count 0
		.amdhsa_reserve_vcc 1
		.amdhsa_float_round_mode_32 0
		.amdhsa_float_round_mode_16_64 0
		.amdhsa_float_denorm_mode_32 3
		.amdhsa_float_denorm_mode_16_64 3
		.amdhsa_fp16_overflow 0
		.amdhsa_memory_ordered 1
		.amdhsa_forward_progress 1
		.amdhsa_inst_pref_size 19
		.amdhsa_round_robin_scheduling 0
		.amdhsa_exception_fp_ieee_invalid_op 0
		.amdhsa_exception_fp_denorm_src 0
		.amdhsa_exception_fp_ieee_div_zero 0
		.amdhsa_exception_fp_ieee_overflow 0
		.amdhsa_exception_fp_ieee_underflow 0
		.amdhsa_exception_fp_ieee_inexact 0
		.amdhsa_exception_int_div_zero 0
	.end_amdhsa_kernel
	.section	.text._ZN2at6native6detailL21chunk_cat_cuda_kernelIccEEvPPT0_PT_PlS8_S8_S8_S8_S8_lll,"axG",@progbits,_ZN2at6native6detailL21chunk_cat_cuda_kernelIccEEvPPT0_PT_PlS8_S8_S8_S8_S8_lll,comdat
.Lfunc_end1:
	.size	_ZN2at6native6detailL21chunk_cat_cuda_kernelIccEEvPPT0_PT_PlS8_S8_S8_S8_S8_lll, .Lfunc_end1-_ZN2at6native6detailL21chunk_cat_cuda_kernelIccEEvPPT0_PT_PlS8_S8_S8_S8_S8_lll
                                        ; -- End function
	.set _ZN2at6native6detailL21chunk_cat_cuda_kernelIccEEvPPT0_PT_PlS8_S8_S8_S8_S8_lll.num_vgpr, 14
	.set _ZN2at6native6detailL21chunk_cat_cuda_kernelIccEEvPPT0_PT_PlS8_S8_S8_S8_S8_lll.num_agpr, 0
	.set _ZN2at6native6detailL21chunk_cat_cuda_kernelIccEEvPPT0_PT_PlS8_S8_S8_S8_S8_lll.numbered_sgpr, 46
	.set _ZN2at6native6detailL21chunk_cat_cuda_kernelIccEEvPPT0_PT_PlS8_S8_S8_S8_S8_lll.num_named_barrier, 0
	.set _ZN2at6native6detailL21chunk_cat_cuda_kernelIccEEvPPT0_PT_PlS8_S8_S8_S8_S8_lll.private_seg_size, 0
	.set _ZN2at6native6detailL21chunk_cat_cuda_kernelIccEEvPPT0_PT_PlS8_S8_S8_S8_S8_lll.uses_vcc, 1
	.set _ZN2at6native6detailL21chunk_cat_cuda_kernelIccEEvPPT0_PT_PlS8_S8_S8_S8_S8_lll.uses_flat_scratch, 0
	.set _ZN2at6native6detailL21chunk_cat_cuda_kernelIccEEvPPT0_PT_PlS8_S8_S8_S8_S8_lll.has_dyn_sized_stack, 0
	.set _ZN2at6native6detailL21chunk_cat_cuda_kernelIccEEvPPT0_PT_PlS8_S8_S8_S8_S8_lll.has_recursion, 0
	.set _ZN2at6native6detailL21chunk_cat_cuda_kernelIccEEvPPT0_PT_PlS8_S8_S8_S8_S8_lll.has_indirect_call, 0
	.section	.AMDGPU.csdata,"",@progbits
; Kernel info:
; codeLenInByte = 2344
; TotalNumSgprs: 48
; NumVgprs: 14
; ScratchSize: 0
; MemoryBound: 0
; FloatMode: 240
; IeeeMode: 1
; LDSByteSize: 0 bytes/workgroup (compile time only)
; SGPRBlocks: 0
; VGPRBlocks: 0
; NumSGPRsForWavesPerEU: 48
; NumVGPRsForWavesPerEU: 14
; NamedBarCnt: 0
; Occupancy: 16
; WaveLimiterHint : 1
; COMPUTE_PGM_RSRC2:SCRATCH_EN: 0
; COMPUTE_PGM_RSRC2:USER_SGPR: 2
; COMPUTE_PGM_RSRC2:TRAP_HANDLER: 0
; COMPUTE_PGM_RSRC2:TGID_X_EN: 1
; COMPUTE_PGM_RSRC2:TGID_Y_EN: 1
; COMPUTE_PGM_RSRC2:TGID_Z_EN: 1
; COMPUTE_PGM_RSRC2:TIDIG_COMP_CNT: 0
	.section	.text._ZN2at6native6detailL21chunk_cat_cuda_kernelIfN3c108BFloat16EEEvPPT0_PT_PlSA_SA_SA_SA_SA_lll,"axG",@progbits,_ZN2at6native6detailL21chunk_cat_cuda_kernelIfN3c108BFloat16EEEvPPT0_PT_PlSA_SA_SA_SA_SA_lll,comdat
	.globl	_ZN2at6native6detailL21chunk_cat_cuda_kernelIfN3c108BFloat16EEEvPPT0_PT_PlSA_SA_SA_SA_SA_lll ; -- Begin function _ZN2at6native6detailL21chunk_cat_cuda_kernelIfN3c108BFloat16EEEvPPT0_PT_PlSA_SA_SA_SA_SA_lll
	.p2align	8
	.type	_ZN2at6native6detailL21chunk_cat_cuda_kernelIfN3c108BFloat16EEEvPPT0_PT_PlSA_SA_SA_SA_SA_lll,@function
_ZN2at6native6detailL21chunk_cat_cuda_kernelIfN3c108BFloat16EEEvPPT0_PT_PlSA_SA_SA_SA_SA_lll: ; @_ZN2at6native6detailL21chunk_cat_cuda_kernelIfN3c108BFloat16EEEvPPT0_PT_PlSA_SA_SA_SA_SA_lll
; %bb.0:
	s_load_b512 s[4:19], s[0:1], 0x0
	s_bfe_u32 s2, ttmp6, 0x4000c
	s_bfe_u32 s20, ttmp6, 0x40010
	s_add_co_i32 s2, s2, 1
	s_and_b32 s3, ttmp6, 15
	s_mul_i32 s2, ttmp9, s2
	s_and_b32 s21, ttmp7, 0xffff
	s_add_co_i32 s20, s20, 1
	s_add_co_i32 s3, s3, s2
	s_mul_i32 s2, s21, s20
	s_bfe_u32 s20, ttmp6, 0x40004
	s_getreg_b32 s33, hwreg(HW_REG_IB_STS2, 6, 4)
	s_add_co_i32 s22, s20, s2
	s_cmp_eq_u32 s33, 0
	s_cselect_b32 s20, ttmp9, s3
	s_cselect_b32 s24, s21, s22
	s_mov_b32 s21, 0
	s_delay_alu instid0(SALU_CYCLE_1) | instskip(SKIP_4) | instid1(SALU_CYCLE_1)
	s_mov_b32 s25, s21
	s_wait_kmcnt 0x0
	s_load_b64 s[2:3], s[8:9], s20 offset:0x0 scale_offset
	s_wait_kmcnt 0x0
	s_lshl_b64 s[22:23], s[2:3], 3
	s_add_nc_u64 s[2:3], s[16:17], s[22:23]
	s_load_b64 s[8:9], s[2:3], 0x0
	s_load_b64 s[26:27], s[0:1], 0x50
	s_wait_kmcnt 0x0
	s_mul_u64 s[28:29], s[8:9], s[24:25]
	s_delay_alu instid0(SALU_CYCLE_1) | instskip(NEXT) | instid1(SALU_CYCLE_1)
	s_or_b64 s[2:3], s[28:29], s[26:27]
	s_and_b64 s[2:3], s[2:3], 0xffffffff00000000
	s_delay_alu instid0(SALU_CYCLE_1)
	s_cmp_lg_u64 s[2:3], 0
	s_cbranch_scc0 .LBB2_5
; %bb.1:
	s_ashr_i32 s2, s27, 31
	s_mov_b32 s37, s21
	s_mov_b32 s3, s2
	;; [unrolled: 1-line block ×3, first 2 shown]
	s_add_nc_u64 s[16:17], s[26:27], s[2:3]
	s_delay_alu instid0(SALU_CYCLE_1) | instskip(NEXT) | instid1(SALU_CYCLE_1)
	s_xor_b64 s[16:17], s[16:17], s[2:3]
	s_cvt_f32_u32 s30, s16
	s_cvt_f32_u32 s31, s17
	s_sub_nc_u64 s[34:35], 0, s[16:17]
	s_delay_alu instid0(SALU_CYCLE_2) | instskip(NEXT) | instid1(SALU_CYCLE_3)
	s_fmamk_f32 s30, s31, 0x4f800000, s30
	v_s_rcp_f32 s30, s30
	s_delay_alu instid0(TRANS32_DEP_1) | instskip(NEXT) | instid1(SALU_CYCLE_3)
	s_mul_f32 s30, s30, 0x5f7ffffc
	s_mul_f32 s31, s30, 0x2f800000
	s_delay_alu instid0(SALU_CYCLE_3) | instskip(NEXT) | instid1(SALU_CYCLE_3)
	s_trunc_f32 s31, s31
	s_fmamk_f32 s30, s31, 0xcf800000, s30
	s_cvt_u32_f32 s31, s31
	s_delay_alu instid0(SALU_CYCLE_2) | instskip(NEXT) | instid1(SALU_CYCLE_3)
	s_cvt_u32_f32 s30, s30
	s_mul_u64 s[38:39], s[34:35], s[30:31]
	s_delay_alu instid0(SALU_CYCLE_1)
	s_mul_hi_u32 s43, s30, s39
	s_mul_i32 s42, s30, s39
	s_mul_hi_u32 s36, s30, s38
	s_mul_i32 s44, s31, s38
	s_add_nc_u64 s[36:37], s[36:37], s[42:43]
	s_mul_hi_u32 s40, s31, s38
	s_mul_hi_u32 s45, s31, s39
	s_add_co_u32 s36, s36, s44
	s_add_co_ci_u32 s40, s37, s40
	s_mul_i32 s38, s31, s39
	s_add_co_ci_u32 s39, s45, 0
	s_delay_alu instid0(SALU_CYCLE_1) | instskip(SKIP_3) | instid1(SALU_CYCLE_1)
	s_add_nc_u64 s[36:37], s[40:41], s[38:39]
	s_mov_b32 s39, s21
	s_add_co_u32 s30, s30, s36
	s_cselect_b32 s36, -1, 0
	s_cmp_lg_u32 s36, 0
	s_add_co_ci_u32 s31, s31, s37
	s_mov_b32 s37, s21
	s_mul_u64 s[34:35], s[34:35], s[30:31]
	s_delay_alu instid0(SALU_CYCLE_1)
	s_mul_hi_u32 s41, s30, s35
	s_mul_i32 s40, s30, s35
	s_mul_hi_u32 s36, s30, s34
	s_mul_i32 s42, s31, s34
	s_add_nc_u64 s[36:37], s[36:37], s[40:41]
	s_mul_hi_u32 s38, s31, s34
	s_mul_hi_u32 s43, s31, s35
	s_mul_i32 s34, s31, s35
	s_add_co_u32 s35, s36, s42
	s_add_co_ci_u32 s38, s37, s38
	s_add_co_ci_u32 s35, s43, 0
	s_mov_b32 s37, s21
	s_add_nc_u64 s[34:35], s[38:39], s[34:35]
	s_delay_alu instid0(SALU_CYCLE_1) | instskip(SKIP_1) | instid1(SALU_CYCLE_1)
	s_add_co_u32 s38, s30, s34
	s_cselect_b32 s30, -1, 0
	s_cmp_lg_u32 s30, 0
	s_add_co_ci_u32 s42, s31, s35
	s_ashr_i32 s30, s29, 31
	s_delay_alu instid0(SALU_CYCLE_1) | instskip(NEXT) | instid1(SALU_CYCLE_1)
	s_mov_b32 s31, s30
	s_add_nc_u64 s[34:35], s[28:29], s[30:31]
	s_delay_alu instid0(SALU_CYCLE_1) | instskip(NEXT) | instid1(SALU_CYCLE_1)
	s_xor_b64 s[34:35], s[34:35], s[30:31]
	s_mul_hi_u32 s41, s34, s42
	s_mul_i32 s40, s34, s42
	s_mul_hi_u32 s36, s34, s38
	s_mul_hi_u32 s43, s35, s38
	s_mul_i32 s38, s35, s38
	s_add_nc_u64 s[36:37], s[36:37], s[40:41]
	s_mul_hi_u32 s29, s35, s42
	s_add_co_u32 s36, s36, s38
	s_add_co_ci_u32 s38, s37, s43
	s_mul_i32 s40, s35, s42
	s_add_co_ci_u32 s41, s29, 0
	s_delay_alu instid0(SALU_CYCLE_1) | instskip(NEXT) | instid1(SALU_CYCLE_1)
	s_add_nc_u64 s[36:37], s[38:39], s[40:41]
	s_and_b64 s[38:39], s[36:37], 0xffffffff00000000
	s_delay_alu instid0(SALU_CYCLE_1) | instskip(NEXT) | instid1(SALU_CYCLE_1)
	s_or_b32 s38, s38, s36
	s_mul_u64 s[36:37], s[16:17], s[38:39]
	s_delay_alu instid0(SALU_CYCLE_1)
	s_sub_co_u32 s29, s34, s36
	s_cselect_b32 s34, -1, 0
	s_sub_co_i32 s36, s35, s37
	s_cmp_lg_u32 s34, 0
	s_sub_co_ci_u32 s36, s36, s17
	s_sub_co_u32 s40, s29, s16
	s_cselect_b32 s41, -1, 0
	s_delay_alu instid0(SALU_CYCLE_1) | instskip(SKIP_1) | instid1(SALU_CYCLE_1)
	s_cmp_lg_u32 s41, 0
	s_sub_co_ci_u32 s36, s36, 0
	s_cmp_ge_u32 s36, s17
	s_cselect_b32 s42, -1, 0
	s_cmp_ge_u32 s40, s16
	s_add_nc_u64 s[40:41], s[38:39], 1
	s_cselect_b32 s43, -1, 0
	s_cmp_eq_u32 s36, s17
	s_cselect_b32 s36, s43, s42
	s_add_nc_u64 s[42:43], s[38:39], 2
	s_cmp_lg_u32 s36, 0
	s_cselect_b32 s36, s42, s40
	s_cselect_b32 s40, s43, s41
	s_cmp_lg_u32 s34, 0
	s_sub_co_ci_u32 s34, s35, s37
	s_delay_alu instid0(SALU_CYCLE_1)
	s_cmp_ge_u32 s34, s17
	s_cselect_b32 s35, -1, 0
	s_cmp_ge_u32 s29, s16
	s_mov_b32 s29, s21
	s_cselect_b32 s16, -1, 0
	s_cmp_eq_u32 s34, s17
	s_cselect_b32 s16, s16, s35
	s_delay_alu instid0(SALU_CYCLE_1) | instskip(SKIP_3) | instid1(SALU_CYCLE_1)
	s_cmp_lg_u32 s16, 0
	s_cselect_b32 s17, s40, s39
	s_cselect_b32 s16, s36, s38
	s_xor_b64 s[2:3], s[30:31], s[2:3]
	s_xor_b64 s[16:17], s[16:17], s[2:3]
	s_delay_alu instid0(SALU_CYCLE_1)
	s_sub_nc_u64 s[16:17], s[16:17], s[2:3]
	s_load_b128 s[0:3], s[0:1], 0x40
	v_cvt_f32_u32_e32 v1, s26
	s_and_not1_b32 vcc_lo, exec_lo, s29
	s_cbranch_vccnz .LBB2_3
.LBB2_2:
	s_delay_alu instid0(VALU_DEP_1) | instskip(SKIP_2) | instid1(TRANS32_DEP_1)
	v_rcp_iflag_f32_e32 v2, v1
	s_sub_co_i32 s17, 0, s26
	v_nop
	v_mul_f32_e32 v2, 0x4f7ffffe, v2
	s_delay_alu instid0(VALU_DEP_1) | instskip(NEXT) | instid1(VALU_DEP_1)
	v_cvt_u32_f32_e32 v2, v2
	v_readfirstlane_b32 s16, v2
	s_mul_i32 s17, s17, s16
	s_delay_alu instid0(SALU_CYCLE_1) | instskip(NEXT) | instid1(SALU_CYCLE_1)
	s_mul_hi_u32 s17, s16, s17
	s_add_co_i32 s16, s16, s17
	s_delay_alu instid0(SALU_CYCLE_1) | instskip(NEXT) | instid1(SALU_CYCLE_1)
	s_mul_hi_u32 s16, s28, s16
	s_mul_i32 s17, s16, s26
	s_delay_alu instid0(SALU_CYCLE_1)
	s_sub_co_i32 s17, s28, s17
	s_add_co_i32 s28, s16, 1
	s_sub_co_i32 s29, s17, s26
	s_cmp_ge_u32 s17, s26
	s_cselect_b32 s16, s28, s16
	s_cselect_b32 s17, s29, s17
	s_add_co_i32 s28, s16, 1
	s_cmp_ge_u32 s17, s26
	s_mov_b32 s17, 0
	s_cselect_b32 s16, s28, s16
.LBB2_3:
	s_or_b64 s[28:29], s[8:9], s[26:27]
	s_add_nc_u64 s[34:35], s[12:13], s[22:23]
	s_and_b64 s[12:13], s[28:29], 0xffffffff00000000
	s_add_nc_u64 s[18:19], s[18:19], s[22:23]
	s_cmp_lg_u64 s[12:13], 0
	s_add_nc_u64 s[14:15], s[14:15], s[22:23]
	s_cbranch_scc0 .LBB2_6
; %bb.4:
	s_ashr_i32 s12, s27, 31
	s_mov_b32 s37, 0
	s_mov_b32 s13, s12
	s_delay_alu instid0(SALU_CYCLE_1) | instskip(NEXT) | instid1(SALU_CYCLE_1)
	s_add_nc_u64 s[28:29], s[26:27], s[12:13]
	s_xor_b64 s[28:29], s[28:29], s[12:13]
	s_delay_alu instid0(SALU_CYCLE_1) | instskip(SKIP_2) | instid1(SALU_CYCLE_2)
	s_cvt_f32_u32 s27, s28
	s_cvt_f32_u32 s30, s29
	s_sub_nc_u64 s[38:39], 0, s[28:29]
	s_fmamk_f32 s27, s30, 0x4f800000, s27
	s_delay_alu instid0(SALU_CYCLE_3) | instskip(NEXT) | instid1(TRANS32_DEP_1)
	v_s_rcp_f32 s27, s27
	s_mul_f32 s27, s27, 0x5f7ffffc
	s_delay_alu instid0(SALU_CYCLE_3) | instskip(NEXT) | instid1(SALU_CYCLE_3)
	s_mul_f32 s30, s27, 0x2f800000
	s_trunc_f32 s30, s30
	s_delay_alu instid0(SALU_CYCLE_3) | instskip(SKIP_1) | instid1(SALU_CYCLE_2)
	s_fmamk_f32 s27, s30, 0xcf800000, s27
	s_cvt_u32_f32 s31, s30
	s_cvt_u32_f32 s30, s27
	s_delay_alu instid0(SALU_CYCLE_3) | instskip(NEXT) | instid1(SALU_CYCLE_1)
	s_mul_u64 s[40:41], s[38:39], s[30:31]
	s_mul_hi_u32 s43, s30, s41
	s_mul_i32 s42, s30, s41
	s_mul_hi_u32 s36, s30, s40
	s_mul_i32 s44, s31, s40
	s_add_nc_u64 s[42:43], s[36:37], s[42:43]
	s_mul_hi_u32 s27, s31, s40
	s_mul_hi_u32 s45, s31, s41
	s_add_co_u32 s36, s42, s44
	s_add_co_ci_u32 s36, s43, s27
	s_mul_i32 s40, s31, s41
	s_add_co_ci_u32 s41, s45, 0
	s_delay_alu instid0(SALU_CYCLE_1) | instskip(NEXT) | instid1(SALU_CYCLE_1)
	s_add_nc_u64 s[40:41], s[36:37], s[40:41]
	s_add_co_u32 s30, s30, s40
	s_cselect_b32 s27, -1, 0
	s_delay_alu instid0(SALU_CYCLE_1) | instskip(SKIP_1) | instid1(SALU_CYCLE_1)
	s_cmp_lg_u32 s27, 0
	s_add_co_ci_u32 s31, s31, s41
	s_mul_u64 s[38:39], s[38:39], s[30:31]
	s_delay_alu instid0(SALU_CYCLE_1)
	s_mul_hi_u32 s41, s30, s39
	s_mul_i32 s40, s30, s39
	s_mul_hi_u32 s36, s30, s38
	s_mul_i32 s42, s31, s38
	s_add_nc_u64 s[40:41], s[36:37], s[40:41]
	s_mul_hi_u32 s27, s31, s38
	s_mul_hi_u32 s43, s31, s39
	s_add_co_u32 s36, s40, s42
	s_add_co_ci_u32 s36, s41, s27
	s_mul_i32 s38, s31, s39
	s_add_co_ci_u32 s39, s43, 0
	s_delay_alu instid0(SALU_CYCLE_1) | instskip(NEXT) | instid1(SALU_CYCLE_1)
	s_add_nc_u64 s[38:39], s[36:37], s[38:39]
	s_add_co_u32 s27, s30, s38
	s_cselect_b32 s30, -1, 0
	s_delay_alu instid0(SALU_CYCLE_1) | instskip(SKIP_2) | instid1(SALU_CYCLE_1)
	s_cmp_lg_u32 s30, 0
	s_add_co_ci_u32 s42, s31, s39
	s_ashr_i32 s30, s9, 31
	s_mov_b32 s31, s30
	s_delay_alu instid0(SALU_CYCLE_1) | instskip(NEXT) | instid1(SALU_CYCLE_1)
	s_add_nc_u64 s[38:39], s[8:9], s[30:31]
	s_xor_b64 s[38:39], s[38:39], s[30:31]
	s_delay_alu instid0(SALU_CYCLE_1)
	s_mul_hi_u32 s41, s38, s42
	s_mul_i32 s40, s38, s42
	s_mul_hi_u32 s36, s38, s27
	s_mul_hi_u32 s44, s39, s27
	s_mul_i32 s27, s39, s27
	s_add_nc_u64 s[40:41], s[36:37], s[40:41]
	s_mul_hi_u32 s43, s39, s42
	s_add_co_u32 s27, s40, s27
	s_add_co_ci_u32 s36, s41, s44
	s_mul_i32 s42, s39, s42
	s_add_co_ci_u32 s43, s43, 0
	s_delay_alu instid0(SALU_CYCLE_1) | instskip(NEXT) | instid1(SALU_CYCLE_1)
	s_add_nc_u64 s[40:41], s[36:37], s[42:43]
	s_and_b64 s[42:43], s[40:41], 0xffffffff00000000
	s_delay_alu instid0(SALU_CYCLE_1) | instskip(NEXT) | instid1(SALU_CYCLE_1)
	s_or_b32 s42, s42, s40
	s_mul_u64 s[40:41], s[28:29], s[42:43]
	s_delay_alu instid0(SALU_CYCLE_1)
	s_sub_co_u32 s27, s38, s40
	s_cselect_b32 s36, -1, 0
	s_sub_co_i32 s38, s39, s41
	s_cmp_lg_u32 s36, 0
	s_sub_co_ci_u32 s38, s38, s29
	s_sub_co_u32 s40, s27, s28
	s_cselect_b32 s44, -1, 0
	s_delay_alu instid0(SALU_CYCLE_1) | instskip(SKIP_2) | instid1(SALU_CYCLE_1)
	s_cmp_lg_u32 s44, 0
	s_add_nc_u64 s[44:45], s[42:43], 1
	s_sub_co_ci_u32 s38, s38, 0
	s_cmp_ge_u32 s38, s29
	s_cselect_b32 s46, -1, 0
	s_cmp_ge_u32 s40, s28
	s_cselect_b32 s40, -1, 0
	s_cmp_eq_u32 s38, s29
	s_cselect_b32 s38, s40, s46
	s_add_nc_u64 s[46:47], s[42:43], 2
	s_cmp_lg_u32 s38, 0
	s_cselect_b32 s38, s46, s44
	s_cselect_b32 s40, s47, s45
	s_cmp_lg_u32 s36, 0
	s_sub_co_ci_u32 s36, s39, s41
	s_delay_alu instid0(SALU_CYCLE_1)
	s_cmp_ge_u32 s36, s29
	s_cselect_b32 s39, -1, 0
	s_cmp_ge_u32 s27, s28
	s_cselect_b32 s27, -1, 0
	s_cmp_eq_u32 s36, s29
	s_cselect_b32 s27, s27, s39
	s_delay_alu instid0(SALU_CYCLE_1) | instskip(SKIP_3) | instid1(SALU_CYCLE_1)
	s_cmp_lg_u32 s27, 0
	s_cselect_b32 s29, s40, s43
	s_cselect_b32 s28, s38, s42
	s_xor_b64 s[12:13], s[30:31], s[12:13]
	s_xor_b64 s[28:29], s[28:29], s[12:13]
	s_delay_alu instid0(SALU_CYCLE_1)
	s_sub_nc_u64 s[38:39], s[28:29], s[12:13]
	s_branch .LBB2_7
.LBB2_5:
                                        ; implicit-def: $sgpr16_sgpr17
	s_load_b128 s[0:3], s[0:1], 0x40
	v_cvt_f32_u32_e32 v1, s26
	s_branch .LBB2_2
.LBB2_6:
	s_mov_b32 s37, -1
                                        ; implicit-def: $sgpr38_sgpr39
.LBB2_7:
	s_load_b64 s[28:29], s[34:35], 0x0
	s_load_b64 s[12:13], s[18:19], 0x0
	;; [unrolled: 1-line block ×3, first 2 shown]
	s_and_not1_b32 vcc_lo, exec_lo, s37
	s_add_nc_u64 s[10:11], s[10:11], s[22:23]
	s_cbranch_vccnz .LBB2_9
; %bb.8:
	v_rcp_iflag_f32_e32 v1, v1
	s_wait_xcnt 0x0
	s_sub_co_i32 s15, 0, s26
	s_mov_b32 s39, 0
	v_nop
	s_delay_alu instid0(TRANS32_DEP_1) | instskip(NEXT) | instid1(VALU_DEP_1)
	v_mul_f32_e32 v1, 0x4f7ffffe, v1
	v_cvt_u32_f32_e32 v1, v1
	s_delay_alu instid0(VALU_DEP_1) | instskip(SKIP_1) | instid1(SALU_CYCLE_1)
	v_readfirstlane_b32 s14, v1
	s_mul_i32 s15, s15, s14
	s_mul_hi_u32 s15, s14, s15
	s_delay_alu instid0(SALU_CYCLE_1) | instskip(NEXT) | instid1(SALU_CYCLE_1)
	s_add_co_i32 s14, s14, s15
	s_mul_hi_u32 s14, s8, s14
	s_delay_alu instid0(SALU_CYCLE_1) | instskip(SKIP_2) | instid1(SALU_CYCLE_1)
	s_mul_i32 s15, s14, s26
	s_add_co_i32 s18, s14, 1
	s_sub_co_i32 s15, s8, s15
	s_sub_co_i32 s19, s15, s26
	s_cmp_ge_u32 s15, s26
	s_cselect_b32 s14, s18, s14
	s_cselect_b32 s15, s19, s15
	s_add_co_i32 s18, s14, 1
	s_cmp_ge_u32 s15, s26
	s_cselect_b32 s38, s18, s14
.LBB2_9:
	s_wait_kmcnt 0x0
	s_sub_nc_u64 s[14:15], s[30:31], s[16:17]
	s_load_b64 s[10:11], s[10:11], 0x0
	v_max_i64 v[2:3], s[14:15], 0
	s_bfe_u32 s14, ttmp6, 0x40014
	s_lshr_b32 s18, ttmp7, 16
	s_add_co_i32 s14, s14, 1
	s_bfe_u32 s15, ttmp6, 0x40008
	s_mul_i32 s14, s18, s14
	v_mov_b32_e32 v1, 0
	s_add_co_i32 s19, s15, s14
	s_cmp_eq_u32 s33, 0
	s_sub_nc_u64 s[14:15], s[20:21], s[28:29]
	s_cselect_b32 s26, s18, s19
	s_lshl_b64 s[14:15], s[14:15], 7
	s_mov_b32 s27, 0
	s_mul_u64 s[18:19], s[2:3], s[24:25]
	s_lshl_b64 s[2:3], s[12:13], 7
	s_mov_b32 s33, exec_lo
	s_delay_alu instid0(VALU_DEP_2) | instskip(SKIP_2) | instid1(VALU_DEP_2)
	v_min_i64 v[4:5], s[38:39], v[2:3]
	v_add_nc_u64_e32 v[2:3], s[14:15], v[0:1]
	s_mul_u64 s[14:15], s[0:1], s[26:27]
	v_lshrrev_b64 v[4:5], 1, v[4:5]
	s_delay_alu instid0(VALU_DEP_1)
	v_cmpx_lt_i64_e64 v[2:3], v[4:5]
	s_cbranch_execz .LBB2_25
; %bb.10:
	s_add_nc_u64 s[0:1], s[12:13], s[20:21]
	s_delay_alu instid0(SALU_CYCLE_1) | instskip(NEXT) | instid1(SALU_CYCLE_1)
	s_lshl_b64 s[0:1], s[0:1], 7
	v_add_nc_u64_e32 v[6:7], s[0:1], v[0:1]
	s_lshl_b64 s[0:1], s[28:29], 7
	s_delay_alu instid0(VALU_DEP_1) | instid1(SALU_CYCLE_1)
	v_sub_nc_u64_e64 v[8:9], v[6:7], s[0:1]
	v_mov_b32_e32 v7, s27
	s_delay_alu instid0(VALU_DEP_2) | instskip(SKIP_2) | instid1(VALU_DEP_1)
	v_max_i64 v[10:11], v[4:5], v[8:9]
	v_cmp_lt_i64_e32 vcc_lo, v[8:9], v[4:5]
	v_cndmask_b32_e64 v6, 0, 1, vcc_lo
	v_add_nc_u64_e32 v[8:9], v[8:9], v[6:7]
	s_delay_alu instid0(VALU_DEP_1) | instskip(NEXT) | instid1(VALU_DEP_1)
	v_sub_nc_u64_e32 v[8:9], v[10:11], v[8:9]
	v_dual_mov_b32 v10, v1 :: v_dual_bitop2_b32 v11, s3, v9 bitop3:0x54
	s_delay_alu instid0(VALU_DEP_1) | instskip(SKIP_1) | instid1(SALU_CYCLE_1)
	v_cmp_ne_u64_e32 vcc_lo, 0, v[10:11]
                                        ; implicit-def: $vgpr10_vgpr11
	s_and_saveexec_b32 s0, vcc_lo
	s_xor_b32 s1, exec_lo, s0
	s_cbranch_execz .LBB2_12
; %bb.11:
	s_cvt_f32_u32 s0, s2
	s_cvt_f32_u32 s24, s3
	s_sub_nc_u64 s[34:35], 0, s[2:3]
	s_mov_b32 s39, 0
	v_dual_mov_b32 v11, 0 :: v_dual_mov_b32 v10, v8
	s_fmamk_f32 s0, s24, 0x4f800000, s0
	s_delay_alu instid0(SALU_CYCLE_3) | instskip(NEXT) | instid1(TRANS32_DEP_1)
	v_s_rcp_f32 s0, s0
	s_mul_f32 s0, s0, 0x5f7ffffc
	s_delay_alu instid0(SALU_CYCLE_3) | instskip(NEXT) | instid1(SALU_CYCLE_3)
	s_mul_f32 s24, s0, 0x2f800000
	s_trunc_f32 s24, s24
	s_delay_alu instid0(SALU_CYCLE_3) | instskip(SKIP_1) | instid1(SALU_CYCLE_2)
	s_fmamk_f32 s0, s24, 0xcf800000, s0
	s_cvt_u32_f32 s25, s24
	s_cvt_u32_f32 s24, s0
	s_delay_alu instid0(SALU_CYCLE_3) | instskip(NEXT) | instid1(SALU_CYCLE_1)
	s_mul_u64 s[36:37], s[34:35], s[24:25]
	s_mul_hi_u32 s41, s24, s37
	s_mul_i32 s40, s24, s37
	s_mul_hi_u32 s38, s24, s36
	s_mul_i32 s42, s25, s36
	s_add_nc_u64 s[40:41], s[38:39], s[40:41]
	s_mul_hi_u32 s0, s25, s36
	s_mul_hi_u32 s43, s25, s37
	s_mul_i32 s36, s25, s37
	s_add_co_u32 s37, s40, s42
	s_add_co_ci_u32 s38, s41, s0
	s_add_co_ci_u32 s37, s43, 0
	s_delay_alu instid0(SALU_CYCLE_1) | instskip(NEXT) | instid1(SALU_CYCLE_1)
	s_add_nc_u64 s[36:37], s[38:39], s[36:37]
	s_add_co_u32 s24, s24, s36
	s_cselect_b32 s0, -1, 0
	s_delay_alu instid0(SALU_CYCLE_1) | instskip(SKIP_1) | instid1(SALU_CYCLE_1)
	s_cmp_lg_u32 s0, 0
	s_add_co_ci_u32 s25, s25, s37
	s_mul_u64 s[34:35], s[34:35], s[24:25]
	s_delay_alu instid0(SALU_CYCLE_1)
	s_mul_hi_u32 s37, s24, s35
	s_mul_i32 s36, s24, s35
	s_mul_hi_u32 s38, s24, s34
	s_mul_i32 s40, s25, s34
	s_add_nc_u64 s[36:37], s[38:39], s[36:37]
	s_mul_hi_u32 s0, s25, s34
	s_mul_hi_u32 s41, s25, s35
	s_mul_i32 s34, s25, s35
	s_add_co_u32 s35, s36, s40
	s_add_co_ci_u32 s38, s37, s0
	s_add_co_ci_u32 s35, s41, 0
	s_delay_alu instid0(SALU_CYCLE_1) | instskip(NEXT) | instid1(SALU_CYCLE_1)
	s_add_nc_u64 s[34:35], s[38:39], s[34:35]
	s_add_co_u32 s0, s24, s34
	s_cselect_b32 s24, -1, 0
	s_delay_alu instid0(SALU_CYCLE_1)
	s_cmp_lg_u32 s24, 0
	s_add_co_ci_u32 s38, s25, s35
	s_mov_b64 s[24:25], 0xffffffff
	v_mul_u64_e32 v[12:13], s[38:39], v[10:11]
	v_mul_hi_u32 v10, v8, s0
	s_and_b64 s[24:25], s[0:1], s[24:25]
	s_delay_alu instid0(VALU_DEP_1) | instskip(SKIP_1) | instid1(VALU_DEP_1)
	v_add_nc_u64_e32 v[12:13], v[10:11], v[12:13]
	v_mov_b32_e32 v10, v9
	v_mul_u64_e32 v[14:15], s[24:25], v[10:11]
	v_mul_u64_e32 v[16:17], s[38:39], v[10:11]
	s_delay_alu instid0(VALU_DEP_2) | instskip(NEXT) | instid1(VALU_DEP_3)
	v_add_co_u32 v1, vcc_lo, v12, v14
	v_add_co_ci_u32_e32 v10, vcc_lo, v13, v15, vcc_lo
	s_delay_alu instid0(VALU_DEP_3) | instskip(NEXT) | instid1(VALU_DEP_1)
	v_add_co_ci_u32_e32 v17, vcc_lo, 0, v17, vcc_lo
	v_add_nc_u64_e32 v[10:11], v[10:11], v[16:17]
	s_delay_alu instid0(VALU_DEP_1) | instskip(SKIP_1) | instid1(VALU_DEP_2)
	v_mul_u64_e32 v[12:13], s[2:3], v[10:11]
	v_add_nc_u64_e32 v[14:15], 2, v[10:11]
	v_sub_nc_u32_e32 v1, v9, v13
	s_delay_alu instid0(VALU_DEP_3) | instskip(NEXT) | instid1(VALU_DEP_1)
	v_sub_co_u32 v8, vcc_lo, v8, v12
	v_sub_co_ci_u32_e64 v13, null, v9, v13, vcc_lo
	s_delay_alu instid0(VALU_DEP_3) | instskip(NEXT) | instid1(VALU_DEP_3)
	v_subrev_co_ci_u32_e64 v1, null, s3, v1, vcc_lo
	v_sub_co_u32 v12, s0, v8, s2
	v_cmp_le_u32_e32 vcc_lo, s2, v8
	s_delay_alu instid0(VALU_DEP_3) | instskip(NEXT) | instid1(VALU_DEP_3)
	v_subrev_co_ci_u32_e64 v1, null, 0, v1, s0
	v_cmp_le_u32_e64 s0, s2, v12
	v_add_nc_u64_e32 v[8:9], 1, v[10:11]
	v_cndmask_b32_e64 v17, 0, -1, vcc_lo
	s_delay_alu instid0(VALU_DEP_4) | instskip(NEXT) | instid1(VALU_DEP_4)
	v_cmp_eq_u32_e32 vcc_lo, s3, v1
	v_cndmask_b32_e64 v12, 0, -1, s0
	v_cmp_le_u32_e64 s0, s3, v1
	s_delay_alu instid0(VALU_DEP_1) | instskip(SKIP_1) | instid1(VALU_DEP_2)
	v_cndmask_b32_e64 v16, 0, -1, s0
	v_cmp_eq_u32_e64 s0, s3, v13
	v_cndmask_b32_e32 v1, v16, v12, vcc_lo
	v_cmp_le_u32_e32 vcc_lo, s3, v13
	v_cndmask_b32_e64 v12, 0, -1, vcc_lo
	s_delay_alu instid0(VALU_DEP_3) | instskip(SKIP_1) | instid1(VALU_DEP_3)
	v_cmp_ne_u32_e32 vcc_lo, 0, v1
	v_dual_cndmask_b32 v9, v9, v15 :: v_dual_cndmask_b32 v8, v8, v14
	v_cndmask_b32_e64 v1, v12, v17, s0
	s_delay_alu instid0(VALU_DEP_1) | instskip(NEXT) | instid1(VALU_DEP_3)
	v_cmp_ne_u32_e32 vcc_lo, 0, v1
	v_dual_cndmask_b32 v11, v11, v9 :: v_dual_cndmask_b32 v10, v10, v8
                                        ; implicit-def: $vgpr8_vgpr9
.LBB2_12:
	s_or_saveexec_b32 s24, s1
	s_add_nc_u64 s[0:1], s[4:5], s[22:23]
	s_xor_b32 exec_lo, exec_lo, s24
	s_cbranch_execz .LBB2_14
; %bb.13:
	v_cvt_f32_u32_e32 v1, s2
	s_sub_co_i32 s4, 0, s2
	v_mov_b32_e32 v11, 0
	s_delay_alu instid0(VALU_DEP_2) | instskip(SKIP_1) | instid1(TRANS32_DEP_1)
	v_rcp_iflag_f32_e32 v1, v1
	v_nop
	v_mul_f32_e32 v1, 0x4f7ffffe, v1
	s_delay_alu instid0(VALU_DEP_1) | instskip(NEXT) | instid1(VALU_DEP_1)
	v_cvt_u32_f32_e32 v1, v1
	v_mul_lo_u32 v9, s4, v1
	s_delay_alu instid0(VALU_DEP_1) | instskip(NEXT) | instid1(VALU_DEP_1)
	v_mul_hi_u32 v9, v1, v9
	v_add_nc_u32_e32 v1, v1, v9
	s_delay_alu instid0(VALU_DEP_1) | instskip(NEXT) | instid1(VALU_DEP_1)
	v_mul_hi_u32 v1, v8, v1
	v_mul_lo_u32 v9, v1, s2
	s_delay_alu instid0(VALU_DEP_1) | instskip(SKIP_1) | instid1(VALU_DEP_2)
	v_sub_nc_u32_e32 v8, v8, v9
	v_add_nc_u32_e32 v9, 1, v1
	v_subrev_nc_u32_e32 v10, s2, v8
	v_cmp_le_u32_e32 vcc_lo, s2, v8
	s_delay_alu instid0(VALU_DEP_2) | instskip(NEXT) | instid1(VALU_DEP_1)
	v_dual_cndmask_b32 v8, v8, v10 :: v_dual_cndmask_b32 v1, v1, v9
	v_cmp_le_u32_e32 vcc_lo, s2, v8
	s_delay_alu instid0(VALU_DEP_2) | instskip(NEXT) | instid1(VALU_DEP_1)
	v_add_nc_u32_e32 v9, 1, v1
	v_cndmask_b32_e32 v10, v1, v9, vcc_lo
.LBB2_14:
	s_or_b32 exec_lo, exec_lo, s24
	s_load_b64 s[0:1], s[0:1], 0x0
	s_delay_alu instid0(VALU_DEP_1) | instskip(SKIP_3) | instid1(VALU_DEP_1)
	v_add_nc_u64_e32 v[6:7], v[10:11], v[6:7]
	s_mul_u64 s[4:5], s[30:31], s[26:27]
	s_mov_b32 s22, 0
                                        ; implicit-def: $vgpr12_vgpr13
                                        ; implicit-def: $vgpr8_vgpr9
                                        ; implicit-def: $vgpr10_vgpr11
	s_mov_b32 s23, exec_lo
	v_add_nc_u64_e32 v[6:7], 1, v[6:7]
	s_delay_alu instid0(VALU_DEP_1)
	v_cmpx_lt_u64_e32 3, v[6:7]
	s_xor_b32 s30, exec_lo, s23
	s_cbranch_execnz .LBB2_17
; %bb.15:
	s_and_not1_saveexec_b32 s20, s30
	s_cbranch_execnz .LBB2_20
.LBB2_16:
	s_or_b32 exec_lo, exec_lo, s20
	s_and_saveexec_b32 s20, s22
	s_cbranch_execnz .LBB2_21
	s_branch .LBB2_24
.LBB2_17:
	s_mul_u64 s[22:23], s[12:13], 0x300
	v_dual_mov_b32 v11, 0 :: v_dual_lshlrev_b32 v10, 1, v0
	s_add_nc_u64 s[22:23], s[16:17], s[22:23]
	s_lshl_b64 s[24:25], s[20:21], 8
	s_lshl_b64 s[26:27], s[28:29], 8
	s_add_nc_u64 s[22:23], s[22:23], s[24:25]
	s_wait_kmcnt 0x0
	s_add_nc_u64 s[24:25], s[10:11], s[18:19]
	v_add_nc_u64_e32 v[12:13], s[22:23], v[10:11]
	v_lshlrev_b32_e32 v10, 2, v0
	v_lshlrev_b64_e32 v[14:15], 1, v[2:3]
	s_lshl_b64 s[20:21], s[20:21], 9
	s_lshl_b64 s[22:23], s[12:13], 9
	;; [unrolled: 1-line block ×3, first 2 shown]
	s_add_nc_u64 s[34:35], s[16:17], s[22:23]
	v_sub_nc_u64_e64 v[12:13], v[12:13], s[26:27]
	s_mul_u64 s[26:27], s[12:13], 0x600
	v_lshlrev_b64_e32 v[22:23], 2, v[2:3]
	s_add_nc_u64 s[26:27], s[24:25], s[26:27]
	v_dual_mov_b32 v9, v7 :: v_dual_bitop2_b32 v8, -4, v6 bitop3:0x40
	s_add_nc_u64 s[20:21], s[26:27], s[20:21]
	s_delay_alu instid0(VALU_DEP_3)
	v_add_nc_u64_e32 v[0:1], s[0:1], v[12:13]
	v_add_nc_u64_e32 v[12:13], s[20:21], v[10:11]
	s_add_nc_u64 s[20:21], s[0:1], s[34:35]
	s_lshl_b64 s[26:27], s[12:13], 10
	v_add_nc_u64_e32 v[10:11], s[20:21], v[14:15]
	s_lshl_b64 s[20:21], s[12:13], 8
	v_mov_b64_e32 v[24:25], v[8:9]
	s_add_nc_u64 s[34:35], s[16:17], s[20:21]
	v_sub_nc_u64_e64 v[16:17], v[12:13], s[28:29]
	s_add_nc_u64 s[28:29], s[0:1], s[34:35]
	s_add_nc_u64 s[34:35], s[0:1], s[16:17]
	v_add_nc_u64_e32 v[12:13], s[28:29], v[14:15]
	s_add_nc_u64 s[28:29], s[24:25], s[26:27]
	v_add_nc_u64_e32 v[14:15], s[34:35], v[14:15]
	s_add_nc_u64 s[28:29], s[6:7], s[28:29]
	s_add_nc_u64 s[34:35], s[24:25], s[22:23]
	v_add_nc_u64_e32 v[18:19], s[28:29], v[22:23]
	s_add_nc_u64 s[28:29], s[6:7], s[34:35]
	s_add_nc_u64 s[34:35], s[6:7], s[24:25]
	v_add_nc_u64_e32 v[16:17], s[6:7], v[16:17]
	v_add_nc_u64_e32 v[20:21], s[28:29], v[22:23]
	v_add_nc_u64_e32 v[22:23], s[34:35], v[22:23]
	s_lshl_b64 s[28:29], s[12:13], 11
	s_mov_b32 s31, 0
.LBB2_18:                               ; =>This Inner Loop Header: Depth=1
	v_add_nc_u64_e32 v[26:27], s[4:5], v[14:15]
	v_add_nc_u64_e32 v[28:29], s[4:5], v[12:13]
	;; [unrolled: 1-line block ×4, first 2 shown]
	v_add_nc_u64_e32 v[24:25], -4, v[24:25]
	v_add_nc_u64_e32 v[0:1], s[26:27], v[0:1]
	v_add_nc_u64_e32 v[10:11], s[26:27], v[10:11]
	flat_load_u16 v34, v[26:27]
	flat_load_u16 v35, v[28:29]
	;; [unrolled: 1-line block ×4, first 2 shown]
	s_wait_xcnt 0x3
	v_add_nc_u64_e32 v[26:27], s[14:15], v[22:23]
	s_wait_xcnt 0x2
	v_add_nc_u64_e32 v[28:29], s[14:15], v[20:21]
	;; [unrolled: 2-line block ×3, first 2 shown]
	v_cmp_eq_u64_e32 vcc_lo, 0, v[24:25]
	s_wait_xcnt 0x0
	v_add_nc_u64_e32 v[32:33], s[14:15], v[16:17]
	v_add_nc_u64_e32 v[12:13], s[26:27], v[12:13]
	;; [unrolled: 1-line block ×7, first 2 shown]
	s_or_b32 s31, vcc_lo, s31
	s_wait_loadcnt_dscnt 0x202
	v_dual_lshlrev_b32 v34, 16, v34 :: v_dual_lshlrev_b32 v35, 16, v35
	s_wait_loadcnt_dscnt 0x0
	v_dual_lshlrev_b32 v36, 16, v36 :: v_dual_lshlrev_b32 v37, 16, v37
	global_store_b32 v[26:27], v34, off
	global_store_b32 v[28:29], v35, off
	;; [unrolled: 1-line block ×4, first 2 shown]
	s_wait_xcnt 0x0
	s_and_not1_b32 exec_lo, exec_lo, s31
	s_cbranch_execnz .LBB2_18
; %bb.19:
	s_or_b32 exec_lo, exec_lo, s31
	v_mad_nc_u64_u32 v[2:3], v8, s2, v[2:3]
	v_cmp_ne_u64_e32 vcc_lo, v[6:7], v[8:9]
	v_mov_b64_e32 v[10:11], s[20:21]
	v_mov_b64_e32 v[12:13], s[24:25]
	s_delay_alu instid0(VALU_DEP_4) | instskip(NEXT) | instid1(VALU_DEP_1)
	v_mad_u32 v0, v9, s2, v3
	v_mad_u32 v3, v8, s3, v0
	v_mov_b64_e32 v[8:9], s[22:23]
	s_and_b32 s22, vcc_lo, exec_lo
	s_and_not1_saveexec_b32 s20, s30
	s_cbranch_execz .LBB2_16
.LBB2_20:
	s_wait_kmcnt 0x0
	s_add_nc_u64 s[24:25], s[10:11], s[18:19]
	s_lshl_b64 s[26:27], s[12:13], 9
	s_lshl_b64 s[28:29], s[12:13], 8
	v_mov_b64_e32 v[12:13], s[24:25]
	v_mov_b64_e32 v[8:9], s[26:27]
	;; [unrolled: 1-line block ×3, first 2 shown]
	s_or_b32 s22, s22, exec_lo
	s_or_b32 exec_lo, exec_lo, s20
	s_and_saveexec_b32 s20, s22
	s_cbranch_execz .LBB2_24
.LBB2_21:
	v_add_nc_u64_e32 v[0:1], s[14:15], v[12:13]
	s_add_nc_u64 s[4:5], s[16:17], s[4:5]
	s_wait_kmcnt 0x0
	s_add_nc_u64 s[0:1], s[0:1], s[4:5]
	s_delay_alu instid0(SALU_CYCLE_1) | instskip(SKIP_1) | instid1(VALU_DEP_2)
	v_lshl_add_u64 v[6:7], v[2:3], 1, s[0:1]
	s_mov_b32 s0, 0
	v_lshl_add_u64 v[0:1], v[2:3], 2, v[0:1]
	s_delay_alu instid0(VALU_DEP_1)
	v_add_nc_u64_e32 v[0:1], s[6:7], v[0:1]
.LBB2_22:                               ; =>This Inner Loop Header: Depth=1
	flat_load_u16 v12, v[6:7]
	v_add_nc_u64_e32 v[2:3], s[2:3], v[2:3]
	s_wait_xcnt 0x0
	v_add_nc_u64_e32 v[6:7], v[6:7], v[10:11]
	s_delay_alu instid0(VALU_DEP_2)
	v_cmp_ge_i64_e32 vcc_lo, v[2:3], v[4:5]
	s_or_b32 s0, vcc_lo, s0
	s_wait_loadcnt_dscnt 0x0
	v_lshlrev_b32_e32 v12, 16, v12
	global_store_b32 v[0:1], v12, off
	s_wait_xcnt 0x0
	v_add_nc_u64_e32 v[0:1], v[0:1], v[8:9]
	s_and_not1_b32 exec_lo, exec_lo, s0
	s_cbranch_execnz .LBB2_22
; %bb.23:
	s_or_b32 exec_lo, exec_lo, s0
.LBB2_24:
	s_delay_alu instid0(SALU_CYCLE_1)
	s_or_b32 exec_lo, exec_lo, s20
.LBB2_25:
	s_delay_alu instid0(SALU_CYCLE_1)
	s_or_b32 exec_lo, exec_lo, s33
	s_wait_kmcnt 0x0
	s_lshr_b64 s[0:1], s[8:9], 2
	s_mov_b32 s4, exec_lo
	v_cmpx_gt_u64_e64 s[0:1], v[2:3]
	s_cbranch_execz .LBB2_28
; %bb.26:
	s_add_nc_u64 s[4:5], s[10:11], s[18:19]
	v_mov_b32_e32 v4, 0
	s_add_nc_u64 s[4:5], s[4:5], s[14:15]
	s_delay_alu instid0(SALU_CYCLE_1)
	s_add_nc_u64 s[4:5], s[6:7], s[4:5]
	s_mov_b32 s6, 0
	v_lshl_add_u64 v[0:1], v[2:3], 2, s[4:5]
	s_lshl_b64 s[4:5], s[12:13], 9
.LBB2_27:                               ; =>This Inner Loop Header: Depth=1
	v_add_nc_u64_e32 v[2:3], s[2:3], v[2:3]
	global_store_b32 v[0:1], v4, off
	s_wait_xcnt 0x0
	v_add_nc_u64_e32 v[0:1], s[4:5], v[0:1]
	v_cmp_le_i64_e32 vcc_lo, s[0:1], v[2:3]
	s_or_b32 s6, vcc_lo, s6
	s_delay_alu instid0(SALU_CYCLE_1)
	s_and_not1_b32 exec_lo, exec_lo, s6
	s_cbranch_execnz .LBB2_27
.LBB2_28:
	s_endpgm
	.section	.rodata,"a",@progbits
	.p2align	6, 0x0
	.amdhsa_kernel _ZN2at6native6detailL21chunk_cat_cuda_kernelIfN3c108BFloat16EEEvPPT0_PT_PlSA_SA_SA_SA_SA_lll
		.amdhsa_group_segment_fixed_size 0
		.amdhsa_private_segment_fixed_size 0
		.amdhsa_kernarg_size 88
		.amdhsa_user_sgpr_count 2
		.amdhsa_user_sgpr_dispatch_ptr 0
		.amdhsa_user_sgpr_queue_ptr 0
		.amdhsa_user_sgpr_kernarg_segment_ptr 1
		.amdhsa_user_sgpr_dispatch_id 0
		.amdhsa_user_sgpr_kernarg_preload_length 0
		.amdhsa_user_sgpr_kernarg_preload_offset 0
		.amdhsa_user_sgpr_private_segment_size 0
		.amdhsa_wavefront_size32 1
		.amdhsa_uses_dynamic_stack 0
		.amdhsa_enable_private_segment 0
		.amdhsa_system_sgpr_workgroup_id_x 1
		.amdhsa_system_sgpr_workgroup_id_y 1
		.amdhsa_system_sgpr_workgroup_id_z 1
		.amdhsa_system_sgpr_workgroup_info 0
		.amdhsa_system_vgpr_workitem_id 0
		.amdhsa_next_free_vgpr 38
		.amdhsa_next_free_sgpr 48
		.amdhsa_named_barrier_count 0
		.amdhsa_reserve_vcc 1
		.amdhsa_float_round_mode_32 0
		.amdhsa_float_round_mode_16_64 0
		.amdhsa_float_denorm_mode_32 3
		.amdhsa_float_denorm_mode_16_64 3
		.amdhsa_fp16_overflow 0
		.amdhsa_memory_ordered 1
		.amdhsa_forward_progress 1
		.amdhsa_inst_pref_size 27
		.amdhsa_round_robin_scheduling 0
		.amdhsa_exception_fp_ieee_invalid_op 0
		.amdhsa_exception_fp_denorm_src 0
		.amdhsa_exception_fp_ieee_div_zero 0
		.amdhsa_exception_fp_ieee_overflow 0
		.amdhsa_exception_fp_ieee_underflow 0
		.amdhsa_exception_fp_ieee_inexact 0
		.amdhsa_exception_int_div_zero 0
	.end_amdhsa_kernel
	.section	.text._ZN2at6native6detailL21chunk_cat_cuda_kernelIfN3c108BFloat16EEEvPPT0_PT_PlSA_SA_SA_SA_SA_lll,"axG",@progbits,_ZN2at6native6detailL21chunk_cat_cuda_kernelIfN3c108BFloat16EEEvPPT0_PT_PlSA_SA_SA_SA_SA_lll,comdat
.Lfunc_end2:
	.size	_ZN2at6native6detailL21chunk_cat_cuda_kernelIfN3c108BFloat16EEEvPPT0_PT_PlSA_SA_SA_SA_SA_lll, .Lfunc_end2-_ZN2at6native6detailL21chunk_cat_cuda_kernelIfN3c108BFloat16EEEvPPT0_PT_PlSA_SA_SA_SA_SA_lll
                                        ; -- End function
	.set _ZN2at6native6detailL21chunk_cat_cuda_kernelIfN3c108BFloat16EEEvPPT0_PT_PlSA_SA_SA_SA_SA_lll.num_vgpr, 38
	.set _ZN2at6native6detailL21chunk_cat_cuda_kernelIfN3c108BFloat16EEEvPPT0_PT_PlSA_SA_SA_SA_SA_lll.num_agpr, 0
	.set _ZN2at6native6detailL21chunk_cat_cuda_kernelIfN3c108BFloat16EEEvPPT0_PT_PlSA_SA_SA_SA_SA_lll.numbered_sgpr, 48
	.set _ZN2at6native6detailL21chunk_cat_cuda_kernelIfN3c108BFloat16EEEvPPT0_PT_PlSA_SA_SA_SA_SA_lll.num_named_barrier, 0
	.set _ZN2at6native6detailL21chunk_cat_cuda_kernelIfN3c108BFloat16EEEvPPT0_PT_PlSA_SA_SA_SA_SA_lll.private_seg_size, 0
	.set _ZN2at6native6detailL21chunk_cat_cuda_kernelIfN3c108BFloat16EEEvPPT0_PT_PlSA_SA_SA_SA_SA_lll.uses_vcc, 1
	.set _ZN2at6native6detailL21chunk_cat_cuda_kernelIfN3c108BFloat16EEEvPPT0_PT_PlSA_SA_SA_SA_SA_lll.uses_flat_scratch, 0
	.set _ZN2at6native6detailL21chunk_cat_cuda_kernelIfN3c108BFloat16EEEvPPT0_PT_PlSA_SA_SA_SA_SA_lll.has_dyn_sized_stack, 0
	.set _ZN2at6native6detailL21chunk_cat_cuda_kernelIfN3c108BFloat16EEEvPPT0_PT_PlSA_SA_SA_SA_SA_lll.has_recursion, 0
	.set _ZN2at6native6detailL21chunk_cat_cuda_kernelIfN3c108BFloat16EEEvPPT0_PT_PlSA_SA_SA_SA_SA_lll.has_indirect_call, 0
	.section	.AMDGPU.csdata,"",@progbits
; Kernel info:
; codeLenInByte = 3332
; TotalNumSgprs: 50
; NumVgprs: 38
; ScratchSize: 0
; MemoryBound: 0
; FloatMode: 240
; IeeeMode: 1
; LDSByteSize: 0 bytes/workgroup (compile time only)
; SGPRBlocks: 0
; VGPRBlocks: 2
; NumSGPRsForWavesPerEU: 50
; NumVGPRsForWavesPerEU: 38
; NamedBarCnt: 0
; Occupancy: 16
; WaveLimiterHint : 1
; COMPUTE_PGM_RSRC2:SCRATCH_EN: 0
; COMPUTE_PGM_RSRC2:USER_SGPR: 2
; COMPUTE_PGM_RSRC2:TRAP_HANDLER: 0
; COMPUTE_PGM_RSRC2:TGID_X_EN: 1
; COMPUTE_PGM_RSRC2:TGID_Y_EN: 1
; COMPUTE_PGM_RSRC2:TGID_Z_EN: 1
; COMPUTE_PGM_RSRC2:TIDIG_COMP_CNT: 0
	.section	.AMDGPU.gpr_maximums,"",@progbits
	.set amdgpu.max_num_vgpr, 0
	.set amdgpu.max_num_agpr, 0
	.set amdgpu.max_num_sgpr, 0
	.section	.AMDGPU.csdata,"",@progbits
	.type	__hip_cuid_b2af8d7ad02457f0,@object ; @__hip_cuid_b2af8d7ad02457f0
	.section	.bss,"aw",@nobits
	.globl	__hip_cuid_b2af8d7ad02457f0
__hip_cuid_b2af8d7ad02457f0:
	.byte	0                               ; 0x0
	.size	__hip_cuid_b2af8d7ad02457f0, 1

	.ident	"AMD clang version 22.0.0git (https://github.com/RadeonOpenCompute/llvm-project roc-7.2.4 26084 f58b06dce1f9c15707c5f808fd002e18c2accf7e)"
	.section	".note.GNU-stack","",@progbits
	.addrsig
	.addrsig_sym __hip_cuid_b2af8d7ad02457f0
	.amdgpu_metadata
---
amdhsa.kernels:
  - .args:
      - .address_space:  global
        .offset:         0
        .size:           8
        .value_kind:     global_buffer
      - .address_space:  global
        .offset:         8
        .size:           8
        .value_kind:     global_buffer
      - .address_space:  global
        .offset:         16
        .size:           8
        .value_kind:     global_buffer
      - .address_space:  global
        .offset:         24
        .size:           8
        .value_kind:     global_buffer
      - .address_space:  global
        .offset:         32
        .size:           8
        .value_kind:     global_buffer
      - .offset:         40
        .size:           8
        .value_kind:     by_value
      - .offset:         48
        .size:           8
        .value_kind:     by_value
      - .offset:         56
        .size:           4
        .value_kind:     hidden_block_count_x
      - .offset:         60
        .size:           4
        .value_kind:     hidden_block_count_y
      - .offset:         64
        .size:           4
        .value_kind:     hidden_block_count_z
      - .offset:         68
        .size:           2
        .value_kind:     hidden_group_size_x
      - .offset:         70
        .size:           2
        .value_kind:     hidden_group_size_y
      - .offset:         72
        .size:           2
        .value_kind:     hidden_group_size_z
      - .offset:         74
        .size:           2
        .value_kind:     hidden_remainder_x
      - .offset:         76
        .size:           2
        .value_kind:     hidden_remainder_y
      - .offset:         78
        .size:           2
        .value_kind:     hidden_remainder_z
      - .offset:         96
        .size:           8
        .value_kind:     hidden_global_offset_x
      - .offset:         104
        .size:           8
        .value_kind:     hidden_global_offset_y
      - .offset:         112
        .size:           8
        .value_kind:     hidden_global_offset_z
      - .offset:         120
        .size:           2
        .value_kind:     hidden_grid_dims
    .group_segment_fixed_size: 0
    .kernarg_segment_align: 8
    .kernarg_segment_size: 312
    .language:       OpenCL C
    .language_version:
      - 2
      - 0
    .max_flat_workgroup_size: 1024
    .name:           _ZN2at6native6detailL51split_with_sizes_copy_out_contiguous_no_cast_kernelEPPcS3_PlS4_S4_ll
    .private_segment_fixed_size: 0
    .sgpr_count:     38
    .sgpr_spill_count: 0
    .symbol:         _ZN2at6native6detailL51split_with_sizes_copy_out_contiguous_no_cast_kernelEPPcS3_PlS4_S4_ll.kd
    .uniform_work_group_size: 1
    .uses_dynamic_stack: false
    .vgpr_count:     24
    .vgpr_spill_count: 0
    .wavefront_size: 32
  - .args:
      - .address_space:  global
        .offset:         0
        .size:           8
        .value_kind:     global_buffer
      - .address_space:  global
        .offset:         8
        .size:           8
        .value_kind:     global_buffer
      - .address_space:  global
        .offset:         16
        .size:           8
        .value_kind:     global_buffer
      - .address_space:  global
        .offset:         24
        .size:           8
        .value_kind:     global_buffer
      - .address_space:  global
        .offset:         32
        .size:           8
        .value_kind:     global_buffer
      - .address_space:  global
        .offset:         40
        .size:           8
        .value_kind:     global_buffer
      - .address_space:  global
        .offset:         48
        .size:           8
        .value_kind:     global_buffer
      - .address_space:  global
        .offset:         56
        .size:           8
        .value_kind:     global_buffer
      - .offset:         64
        .size:           8
        .value_kind:     by_value
      - .offset:         72
        .size:           8
        .value_kind:     by_value
      - .offset:         80
        .size:           8
        .value_kind:     by_value
    .group_segment_fixed_size: 0
    .kernarg_segment_align: 8
    .kernarg_segment_size: 88
    .language:       OpenCL C
    .language_version:
      - 2
      - 0
    .max_flat_workgroup_size: 1024
    .name:           _ZN2at6native6detailL21chunk_cat_cuda_kernelIccEEvPPT0_PT_PlS8_S8_S8_S8_S8_lll
    .private_segment_fixed_size: 0
    .sgpr_count:     48
    .sgpr_spill_count: 0
    .symbol:         _ZN2at6native6detailL21chunk_cat_cuda_kernelIccEEvPPT0_PT_PlS8_S8_S8_S8_S8_lll.kd
    .uniform_work_group_size: 1
    .uses_dynamic_stack: false
    .vgpr_count:     14
    .vgpr_spill_count: 0
    .wavefront_size: 32
  - .args:
      - .address_space:  global
        .offset:         0
        .size:           8
        .value_kind:     global_buffer
      - .address_space:  global
        .offset:         8
        .size:           8
        .value_kind:     global_buffer
      - .address_space:  global
        .offset:         16
        .size:           8
        .value_kind:     global_buffer
      - .address_space:  global
        .offset:         24
        .size:           8
        .value_kind:     global_buffer
      - .address_space:  global
        .offset:         32
        .size:           8
        .value_kind:     global_buffer
      - .address_space:  global
        .offset:         40
        .size:           8
        .value_kind:     global_buffer
      - .address_space:  global
        .offset:         48
        .size:           8
        .value_kind:     global_buffer
      - .address_space:  global
        .offset:         56
        .size:           8
        .value_kind:     global_buffer
      - .offset:         64
        .size:           8
        .value_kind:     by_value
      - .offset:         72
        .size:           8
        .value_kind:     by_value
      - .offset:         80
        .size:           8
        .value_kind:     by_value
    .group_segment_fixed_size: 0
    .kernarg_segment_align: 8
    .kernarg_segment_size: 88
    .language:       OpenCL C
    .language_version:
      - 2
      - 0
    .max_flat_workgroup_size: 1024
    .name:           _ZN2at6native6detailL21chunk_cat_cuda_kernelIfN3c108BFloat16EEEvPPT0_PT_PlSA_SA_SA_SA_SA_lll
    .private_segment_fixed_size: 0
    .sgpr_count:     50
    .sgpr_spill_count: 0
    .symbol:         _ZN2at6native6detailL21chunk_cat_cuda_kernelIfN3c108BFloat16EEEvPPT0_PT_PlSA_SA_SA_SA_SA_lll.kd
    .uniform_work_group_size: 1
    .uses_dynamic_stack: false
    .vgpr_count:     38
    .vgpr_spill_count: 0
    .wavefront_size: 32
amdhsa.target:   amdgcn-amd-amdhsa--gfx1250
amdhsa.version:
  - 1
  - 2
...

	.end_amdgpu_metadata
